;; amdgpu-corpus repo=ROCm/rocFFT kind=compiled arch=gfx1100 opt=O3
	.text
	.amdgcn_target "amdgcn-amd-amdhsa--gfx1100"
	.amdhsa_code_object_version 6
	.protected	bluestein_single_fwd_len3750_dim1_dp_op_CI_CI ; -- Begin function bluestein_single_fwd_len3750_dim1_dp_op_CI_CI
	.globl	bluestein_single_fwd_len3750_dim1_dp_op_CI_CI
	.p2align	8
	.type	bluestein_single_fwd_len3750_dim1_dp_op_CI_CI,@function
bluestein_single_fwd_len3750_dim1_dp_op_CI_CI: ; @bluestein_single_fwd_len3750_dim1_dp_op_CI_CI
; %bb.0:
	s_load_b128 s[16:19], s[0:1], 0x28
	v_mul_u32_u24_e32 v1, 0x20d, v0
	s_mov_b32 s2, exec_lo
	v_mov_b32_e32 v3, 0
	s_delay_alu instid0(VALU_DEP_2) | instskip(NEXT) | instid1(VALU_DEP_1)
	v_lshrrev_b32_e32 v1, 16, v1
	v_add_nc_u32_e32 v2, s15, v1
	s_waitcnt lgkmcnt(0)
	s_delay_alu instid0(VALU_DEP_1)
	v_cmpx_gt_u64_e64 s[16:17], v[2:3]
	s_cbranch_execz .LBB0_2
; %bb.1:
	s_clause 0x1
	s_load_b128 s[4:7], s[0:1], 0x18
	s_load_b128 s[8:11], s[0:1], 0x0
	v_mul_lo_u16 v1, 0x7d, v1
	v_mov_b32_e32 v6, v2
	s_mov_b32 s21, 0xbfebb67a
	s_mov_b32 s16, 0x372fe950
	;; [unrolled: 1-line block ×3, first 2 shown]
	v_sub_nc_u16 v125, v0, v1
	scratch_store_b64 off, v[6:7], off      ; 8-byte Folded Spill
	s_mov_b32 s25, 0xbfd3c6ef
	s_mov_b32 s24, s16
	;; [unrolled: 1-line block ×3, first 2 shown]
	v_and_b32_e32 v172, 0xffff, v125
	s_load_b64 s[0:1], s[0:1], 0x38
	s_waitcnt lgkmcnt(0)
	s_load_b128 s[12:15], s[4:5], 0x0
	s_waitcnt lgkmcnt(0)
	v_mad_u64_u32 v[0:1], null, s14, v2, 0
	v_mad_u64_u32 v[2:3], null, s12, v172, 0
	s_mul_hi_u32 s4, s12, 0x4e20
	s_mul_i32 s3, s12, 0x4e20
	s_mul_i32 s5, s13, 0xffff6b90
	s_delay_alu instid0(VALU_DEP_1) | instskip(SKIP_1) | instid1(VALU_DEP_1)
	v_mad_u64_u32 v[4:5], null, s15, v6, v[1:2]
	s_mov_b32 s15, 0xbfee6f0e
	v_mov_b32_e32 v1, v4
	s_delay_alu instid0(VALU_DEP_3) | instskip(SKIP_2) | instid1(VALU_DEP_4)
	v_mad_u64_u32 v[5:6], null, s13, v172, v[3:4]
	v_lshlrev_b32_e32 v48, 4, v172
	v_add_co_u32 v124, null, 0x177, v172
	v_lshlrev_b64 v[0:1], 4, v[0:1]
	v_add_co_u32 v200, null, 0x1f4, v172
	v_mov_b32_e32 v3, v5
	v_add_co_u32 v174, s2, s8, v48
	s_delay_alu instid0(VALU_DEP_4) | instskip(NEXT) | instid1(VALU_DEP_3)
	v_add_co_u32 v0, vcc_lo, s18, v0
	v_lshlrev_b64 v[2:3], 4, v[2:3]
	v_add_co_ci_u32_e32 v1, vcc_lo, s19, v1, vcc_lo
	v_add_co_ci_u32_e64 v49, null, s9, 0, s2
	v_add_co_u32 v40, s2, 0x9000, v174
	s_delay_alu instid0(VALU_DEP_4) | instskip(NEXT) | instid1(VALU_DEP_4)
	v_add_co_u32 v4, vcc_lo, v0, v2
	v_add_co_ci_u32_e32 v5, vcc_lo, v1, v3, vcc_lo
	v_add_co_u32 v42, vcc_lo, 0x4000, v174
	v_add_co_ci_u32_e32 v43, vcc_lo, 0, v49, vcc_lo
	v_add_co_ci_u32_e64 v41, vcc_lo, 0, v49, s2
	s_mul_i32 s2, s13, 0x4e20
	global_load_b128 v[0:3], v[4:5], off
	s_add_i32 s2, s4, s2
	v_add_co_u32 v4, vcc_lo, v4, s3
	v_add_co_ci_u32_e32 v5, vcc_lo, s2, v5, vcc_lo
	s_clause 0x2
	global_load_b128 v[78:81], v48, s[8:9]
	global_load_b128 v[70:73], v[42:43], off offset:3616
	global_load_b128 v[66:69], v[40:41], off offset:3136
	s_mul_hi_u32 s13, s12, 0xffff6b90
	global_load_b128 v[8:11], v[4:5], off
	v_add_co_u32 v4, vcc_lo, v4, s3
	v_add_co_ci_u32_e32 v5, vcc_lo, s2, v5, vcc_lo
	s_mul_i32 s4, s12, 0xffff6b90
	s_sub_i32 s12, s13, s12
	s_delay_alu instid0(VALU_DEP_2)
	v_add_co_u32 v16, vcc_lo, v4, s4
	s_add_i32 s5, s12, s5
	s_mov_b32 s18, 0xe8584caa
	v_add_co_ci_u32_e32 v17, vcc_lo, s5, v5, vcc_lo
	global_load_b128 v[12:15], v[4:5], off
	global_load_b128 v[82:85], v48, s[8:9] offset:2000
	global_load_b128 v[4:7], v[16:17], off
	v_add_co_u32 v28, vcc_lo, 0x5000, v174
	v_add_co_ci_u32_e32 v29, vcc_lo, 0, v49, vcc_lo
	v_add_co_u32 v20, vcc_lo, v16, s3
	v_add_co_ci_u32_e32 v21, vcc_lo, s2, v17, vcc_lo
	;; [unrolled: 2-line block ×3, first 2 shown]
	global_load_b128 v[74:77], v[28:29], off offset:1520
	global_load_b128 v[16:19], v[20:21], off
	v_add_co_u32 v20, vcc_lo, v20, s3
	v_add_co_ci_u32_e32 v21, vcc_lo, s2, v21, vcc_lo
	global_load_b128 v[62:65], v[32:33], off offset:1040
	v_add_co_u32 v30, vcc_lo, v20, s4
	v_add_co_ci_u32_e32 v31, vcc_lo, s5, v21, vcc_lo
	global_load_b128 v[24:27], v[20:21], off
	global_load_b128 v[86:89], v48, s[8:9] offset:4000
	global_load_b128 v[20:23], v[30:31], off
	v_add_co_u32 v34, vcc_lo, v30, s3
	v_add_co_ci_u32_e32 v35, vcc_lo, s2, v31, vcc_lo
	v_add_co_u32 v44, vcc_lo, 0x1000, v174
	v_add_co_ci_u32_e32 v45, vcc_lo, 0, v49, vcc_lo
	global_load_b128 v[90:93], v[28:29], off offset:3520
	global_load_b128 v[28:31], v[34:35], off
	v_add_co_u32 v34, vcc_lo, v34, s3
	v_add_co_ci_u32_e32 v35, vcc_lo, s2, v35, vcc_lo
	global_load_b128 v[94:97], v[32:33], off offset:3040
	v_add_co_u32 v46, vcc_lo, v34, s4
	v_add_co_ci_u32_e32 v47, vcc_lo, s5, v35, vcc_lo
	global_load_b128 v[36:39], v[34:35], off
	global_load_b128 v[98:101], v[44:45], off offset:1904
	global_load_b128 v[32:35], v[46:47], off
	s_mov_b32 s19, 0x3febb67a
	s_mov_b32 s20, s18
	v_add_co_u32 v203, null, 0x271, v172
	s_mov_b32 s12, 0x134454ff
	s_mov_b32 s13, 0x3fee6f0e
	s_mov_b32 s14, s12
	s_mov_b32 s9, 0xbfe2cf23
	s_waitcnt vmcnt(18)
	scratch_store_b128 off, v[78:81], off offset:472 ; 16-byte Folded Spill
	v_mul_f64 v[50:51], v[2:3], v[80:81]
	v_mul_f64 v[52:53], v[0:1], v[80:81]
	s_waitcnt vmcnt(17)
	scratch_store_b128 off, v[70:73], off offset:456 ; 16-byte Folded Spill
	s_waitcnt vmcnt(16)
	scratch_store_b128 off, v[66:69], off offset:440 ; 16-byte Folded Spill
	s_waitcnt vmcnt(15)
	v_mul_f64 v[54:55], v[10:11], v[72:73]
	v_mul_f64 v[56:57], v[8:9], v[72:73]
	s_waitcnt vmcnt(14)
	v_mul_f64 v[58:59], v[14:15], v[68:69]
	v_mul_f64 v[60:61], v[12:13], v[68:69]
	s_waitcnt vmcnt(13)
	scratch_store_b128 off, v[82:85], off offset:408 ; 16-byte Folded Spill
	s_waitcnt vmcnt(11)
	scratch_store_b128 off, v[74:77], off offset:424 ; 16-byte Folded Spill
	;; [unrolled: 2-line block ×3, first 2 shown]
	v_fma_f64 v[0:1], v[0:1], v[78:79], v[50:51]
	v_fma_f64 v[2:3], v[2:3], v[78:79], -v[52:53]
	v_mul_f64 v[50:51], v[6:7], v[84:85]
	v_mul_f64 v[52:53], v[4:5], v[84:85]
	s_waitcnt vmcnt(7)
	scratch_store_b128 off, v[86:89], off offset:360 ; 16-byte Folded Spill
	v_fma_f64 v[8:9], v[8:9], v[70:71], v[54:55]
	v_fma_f64 v[10:11], v[10:11], v[70:71], -v[56:57]
	v_mul_f64 v[54:55], v[18:19], v[76:77]
	v_mul_f64 v[56:57], v[16:17], v[76:77]
	s_waitcnt vmcnt(5)
	scratch_store_b128 off, v[90:93], off offset:376 ; 16-byte Folded Spill
	v_fma_f64 v[12:13], v[12:13], v[66:67], v[58:59]
	v_fma_f64 v[14:15], v[14:15], v[66:67], -v[60:61]
	s_waitcnt vmcnt(3)
	scratch_store_b128 off, v[94:97], off offset:328 ; 16-byte Folded Spill
	v_mul_f64 v[58:59], v[26:27], v[64:65]
	v_mul_f64 v[60:61], v[24:25], v[64:65]
	v_fma_f64 v[4:5], v[4:5], v[82:83], v[50:51]
	v_fma_f64 v[6:7], v[6:7], v[82:83], -v[52:53]
	v_mul_f64 v[50:51], v[22:23], v[88:89]
	v_mul_f64 v[52:53], v[20:21], v[88:89]
	v_fma_f64 v[16:17], v[16:17], v[74:75], v[54:55]
	v_fma_f64 v[18:19], v[18:19], v[74:75], -v[56:57]
	;; [unrolled: 4-line block ×3, first 2 shown]
	s_waitcnt vmcnt(2)
	v_mul_f64 v[58:59], v[38:39], v[96:97]
	v_mul_f64 v[60:61], v[36:37], v[96:97]
	v_add_co_u32 v62, vcc_lo, 0x6000, v174
	v_add_co_ci_u32_e32 v63, vcc_lo, 0, v49, vcc_lo
	v_add_co_u32 v46, vcc_lo, v46, s3
	v_add_co_ci_u32_e32 v47, vcc_lo, s2, v47, vcc_lo
	;; [unrolled: 2-line block ×3, first 2 shown]
	v_fma_f64 v[20:21], v[20:21], v[86:87], v[50:51]
	v_fma_f64 v[22:23], v[22:23], v[86:87], -v[52:53]
	s_waitcnt vmcnt(0)
	v_mul_f64 v[50:51], v[34:35], v[100:101]
	v_mul_f64 v[52:53], v[32:33], v[100:101]
	v_fma_f64 v[28:29], v[28:29], v[90:91], v[54:55]
	v_fma_f64 v[30:31], v[30:31], v[90:91], -v[56:57]
	v_fma_f64 v[36:37], v[36:37], v[94:95], v[58:59]
	v_fma_f64 v[38:39], v[38:39], v[94:95], -v[60:61]
	global_load_b128 v[58:61], v[62:63], off offset:1424
	s_waitcnt vmcnt(0)
	s_clause 0x1
	scratch_store_b128 off, v[58:61], off offset:264
	scratch_store_b128 off, v[98:101], off offset:344
	v_fma_f64 v[32:33], v[32:33], v[98:99], v[50:51]
	v_fma_f64 v[34:35], v[34:35], v[98:99], -v[52:53]
	global_load_b128 v[50:53], v[46:47], off
	v_add_co_u32 v46, vcc_lo, v46, s3
	v_add_co_ci_u32_e32 v47, vcc_lo, s2, v47, vcc_lo
	s_clause 0x1
	global_load_b128 v[66:69], v[64:65], off offset:944
	global_load_b128 v[126:129], v[42:43], off offset:1616
	s_waitcnt vmcnt(2)
	v_mul_f64 v[54:55], v[52:53], v[60:61]
	v_mul_f64 v[56:57], v[50:51], v[60:61]
	s_waitcnt vmcnt(1)
	scratch_store_b128 off, v[66:69], off offset:232 ; 16-byte Folded Spill
	s_waitcnt vmcnt(0)
	scratch_store_b128 off, v[126:129], off offset:104 ; 16-byte Folded Spill
	v_fma_f64 v[50:51], v[50:51], v[58:59], v[54:55]
	v_fma_f64 v[52:53], v[52:53], v[58:59], -v[56:57]
	global_load_b128 v[54:57], v[46:47], off
	s_waitcnt vmcnt(0)
	v_mul_f64 v[58:59], v[56:57], v[68:69]
	v_mul_f64 v[60:61], v[54:55], v[68:69]
	global_load_b128 v[68:71], v[44:45], off offset:3904
	v_fma_f64 v[54:55], v[54:55], v[66:67], v[58:59]
	v_add_co_u32 v58, vcc_lo, v46, s4
	v_add_co_ci_u32_e32 v59, vcc_lo, s5, v47, vcc_lo
	v_fma_f64 v[56:57], v[56:57], v[66:67], -v[60:61]
	global_load_b128 v[44:47], v[58:59], off
	s_waitcnt vmcnt(1)
	scratch_store_b128 off, v[68:71], off offset:248 ; 16-byte Folded Spill
	s_waitcnt vmcnt(0)
	v_mul_f64 v[66:67], v[44:45], v[70:71]
	v_mul_f64 v[60:61], v[46:47], v[70:71]
	global_load_b128 v[70:73], v[62:63], off offset:3424
	v_fma_f64 v[46:47], v[46:47], v[68:69], -v[66:67]
	v_add_co_u32 v66, vcc_lo, v58, s3
	v_add_co_ci_u32_e32 v67, vcc_lo, s2, v59, vcc_lo
	v_fma_f64 v[44:45], v[44:45], v[68:69], v[60:61]
	global_load_b128 v[58:61], v[66:67], off
	v_add_co_u32 v66, vcc_lo, v66, s3
	v_add_co_ci_u32_e32 v67, vcc_lo, s2, v67, vcc_lo
	s_waitcnt vmcnt(1)
	scratch_store_b128 off, v[70:73], off offset:280 ; 16-byte Folded Spill
	s_waitcnt vmcnt(0)
	v_mul_f64 v[62:63], v[60:61], v[72:73]
	v_mul_f64 v[68:69], v[58:59], v[72:73]
	global_load_b128 v[72:75], v[64:65], off offset:2944
	v_fma_f64 v[58:59], v[58:59], v[70:71], v[62:63]
	global_load_b128 v[62:65], v[66:67], off
	v_fma_f64 v[60:61], v[60:61], v[70:71], -v[68:69]
	s_waitcnt vmcnt(0)
	v_mul_f64 v[70:71], v[62:63], v[74:75]
	v_mul_f64 v[68:69], v[64:65], v[74:75]
	s_delay_alu instid0(VALU_DEP_2)
	v_fma_f64 v[64:65], v[64:65], v[72:73], -v[70:71]
	v_add_co_u32 v70, vcc_lo, v66, s4
	v_add_co_ci_u32_e32 v71, vcc_lo, s5, v67, vcc_lo
	v_add_co_u32 v78, vcc_lo, 0x2000, v174
	v_add_co_ci_u32_e32 v79, vcc_lo, 0, v49, vcc_lo
	v_fma_f64 v[62:63], v[62:63], v[72:73], v[68:69]
	global_load_b128 v[66:69], v[70:71], off
	global_load_b128 v[80:83], v[78:79], off offset:1808
	scratch_store_b128 off, v[72:75], off offset:296 ; 16-byte Folded Spill
	s_waitcnt vmcnt(0)
	scratch_store_b128 off, v[80:83], off offset:312 ; 16-byte Folded Spill
	v_mul_f64 v[74:75], v[66:67], v[82:83]
	v_mul_f64 v[72:73], v[68:69], v[82:83]
	s_delay_alu instid0(VALU_DEP_2)
	v_fma_f64 v[68:69], v[68:69], v[80:81], -v[74:75]
	v_add_co_u32 v74, vcc_lo, v70, s3
	v_add_co_ci_u32_e32 v75, vcc_lo, s2, v71, vcc_lo
	v_add_co_u32 v82, vcc_lo, 0x7000, v174
	v_add_co_ci_u32_e32 v83, vcc_lo, 0, v49, vcc_lo
	global_load_b128 v[84:87], v[82:83], off offset:1328
	v_fma_f64 v[66:67], v[66:67], v[80:81], v[72:73]
	global_load_b128 v[70:73], v[74:75], off
	s_waitcnt vmcnt(1)
	scratch_store_b128 off, v[84:87], off offset:184 ; 16-byte Folded Spill
	s_waitcnt vmcnt(0)
	v_mul_f64 v[80:81], v[70:71], v[86:87]
	v_mul_f64 v[76:77], v[72:73], v[86:87]
	s_delay_alu instid0(VALU_DEP_2)
	v_fma_f64 v[72:73], v[72:73], v[84:85], -v[80:81]
	v_add_co_u32 v80, vcc_lo, v74, s3
	v_add_co_ci_u32_e32 v81, vcc_lo, s2, v75, vcc_lo
	v_add_co_u32 v86, vcc_lo, 0xc000, v174
	v_add_co_ci_u32_e32 v87, vcc_lo, 0, v49, vcc_lo
	v_fma_f64 v[70:71], v[70:71], v[84:85], v[76:77]
	global_load_b128 v[74:77], v[80:81], off
	global_load_b128 v[90:93], v[86:87], off offset:848
	s_waitcnt vmcnt(0)
	v_mul_f64 v[84:85], v[76:77], v[92:93]
	v_mul_f64 v[88:89], v[74:75], v[92:93]
	scratch_store_b128 off, v[90:93], off offset:200 ; 16-byte Folded Spill
	global_load_b128 v[92:95], v[78:79], off offset:3808
	v_fma_f64 v[74:75], v[74:75], v[90:91], v[84:85]
	v_add_co_u32 v84, vcc_lo, v80, s4
	v_add_co_ci_u32_e32 v85, vcc_lo, s5, v81, vcc_lo
	v_fma_f64 v[76:77], v[76:77], v[90:91], -v[88:89]
	global_load_b128 v[78:81], v[84:85], off
	s_waitcnt vmcnt(1)
	scratch_store_b128 off, v[92:95], off offset:216 ; 16-byte Folded Spill
	s_waitcnt vmcnt(0)
	v_mul_f64 v[88:89], v[80:81], v[94:95]
	v_mul_f64 v[90:91], v[78:79], v[94:95]
	global_load_b128 v[94:97], v[82:83], off offset:3328
	v_fma_f64 v[78:79], v[78:79], v[92:93], v[88:89]
	v_add_co_u32 v88, vcc_lo, v84, s3
	v_add_co_ci_u32_e32 v89, vcc_lo, s2, v85, vcc_lo
	v_fma_f64 v[80:81], v[80:81], v[92:93], -v[90:91]
	global_load_b128 v[82:85], v[88:89], off
	s_waitcnt vmcnt(1)
	scratch_store_b128 off, v[94:97], off offset:152 ; 16-byte Folded Spill
	s_waitcnt vmcnt(0)
	v_mul_f64 v[90:91], v[84:85], v[96:97]
	v_mul_f64 v[92:93], v[82:83], v[96:97]
	global_load_b128 v[96:99], v[86:87], off offset:2848
	v_fma_f64 v[82:83], v[82:83], v[94:95], v[90:91]
	v_add_co_u32 v90, vcc_lo, v88, s3
	v_add_co_ci_u32_e32 v91, vcc_lo, s2, v89, vcc_lo
	v_fma_f64 v[84:85], v[84:85], v[94:95], -v[92:93]
	global_load_b128 v[86:89], v[90:91], off
	s_waitcnt vmcnt(0)
	v_mul_f64 v[94:95], v[86:87], v[98:99]
	v_mul_f64 v[92:93], v[88:89], v[98:99]
	s_delay_alu instid0(VALU_DEP_2)
	v_fma_f64 v[88:89], v[88:89], v[96:97], -v[94:95]
	v_add_co_u32 v94, vcc_lo, v90, s4
	v_add_co_ci_u32_e32 v95, vcc_lo, s5, v91, vcc_lo
	v_add_co_u32 v102, vcc_lo, 0x3000, v174
	v_add_co_ci_u32_e32 v103, vcc_lo, 0, v49, vcc_lo
	v_fma_f64 v[86:87], v[86:87], v[96:97], v[92:93]
	global_load_b128 v[90:93], v[94:95], off
	global_load_b128 v[104:107], v[102:103], off offset:1712
	scratch_store_b128 off, v[96:99], off offset:120 ; 16-byte Folded Spill
	s_waitcnt vmcnt(0)
	scratch_store_b128 off, v[104:107], off offset:72 ; 16-byte Folded Spill
	v_mul_f64 v[98:99], v[90:91], v[106:107]
	v_mul_f64 v[96:97], v[92:93], v[106:107]
	s_delay_alu instid0(VALU_DEP_2)
	v_fma_f64 v[92:93], v[92:93], v[104:105], -v[98:99]
	v_add_co_u32 v98, vcc_lo, v94, s3
	v_add_co_ci_u32_e32 v99, vcc_lo, s2, v95, vcc_lo
	v_add_co_u32 v106, vcc_lo, 0x8000, v174
	v_add_co_ci_u32_e32 v107, vcc_lo, 0, v49, vcc_lo
	v_fma_f64 v[90:91], v[90:91], v[104:105], v[96:97]
	global_load_b128 v[94:97], v[98:99], off
	global_load_b128 v[108:111], v[106:107], off offset:1232
	s_waitcnt vmcnt(0)
	v_mul_f64 v[104:105], v[94:95], v[110:111]
	v_mul_f64 v[100:101], v[96:97], v[110:111]
	scratch_store_b128 off, v[108:111], off offset:56 ; 16-byte Folded Spill
	v_fma_f64 v[96:97], v[96:97], v[108:109], -v[104:105]
	v_add_co_u32 v104, vcc_lo, v98, s3
	v_add_co_ci_u32_e32 v105, vcc_lo, s2, v99, vcc_lo
	v_add_co_u32 v110, vcc_lo, 0xd000, v174
	v_add_co_ci_u32_e32 v111, vcc_lo, 0, v49, vcc_lo
	global_load_b128 v[114:117], v[110:111], off offset:752
	v_fma_f64 v[94:95], v[94:95], v[108:109], v[100:101]
	global_load_b128 v[98:101], v[104:105], off
	s_waitcnt vmcnt(1)
	scratch_store_b128 off, v[114:117], off offset:88 ; 16-byte Folded Spill
	s_waitcnt vmcnt(0)
	v_mul_f64 v[108:109], v[100:101], v[116:117]
	v_mul_f64 v[112:113], v[98:99], v[116:117]
	global_load_b128 v[116:119], v[102:103], off offset:3712
	v_fma_f64 v[98:99], v[98:99], v[114:115], v[108:109]
	v_add_co_u32 v108, vcc_lo, v104, s4
	v_add_co_ci_u32_e32 v109, vcc_lo, s5, v105, vcc_lo
	v_fma_f64 v[100:101], v[100:101], v[114:115], -v[112:113]
	global_load_b128 v[102:105], v[108:109], off
	s_waitcnt vmcnt(1)
	scratch_store_b128 off, v[116:119], off offset:8 ; 16-byte Folded Spill
	s_waitcnt vmcnt(0)
	v_mul_f64 v[112:113], v[104:105], v[118:119]
	v_mul_f64 v[114:115], v[102:103], v[118:119]
	global_load_b128 v[118:121], v[106:107], off offset:3232
	v_fma_f64 v[102:103], v[102:103], v[116:117], v[112:113]
	v_add_co_u32 v112, vcc_lo, v108, s3
	v_add_co_ci_u32_e32 v113, vcc_lo, s2, v109, vcc_lo
	v_fma_f64 v[104:105], v[104:105], v[116:117], -v[114:115]
	;; [unrolled: 11-line block ×3, first 2 shown]
	global_load_b128 v[110:113], v[114:115], off
	s_waitcnt vmcnt(1)
	scratch_store_b128 off, v[120:123], off offset:40 ; 16-byte Folded Spill
	s_waitcnt vmcnt(0)
	v_mul_f64 v[118:119], v[110:111], v[122:123]
	v_mul_f64 v[116:117], v[112:113], v[122:123]
	s_delay_alu instid0(VALU_DEP_2) | instskip(SKIP_2) | instid1(VALU_DEP_4)
	v_fma_f64 v[112:113], v[112:113], v[120:121], -v[118:119]
	v_add_co_u32 v118, vcc_lo, v114, s4
	v_add_co_ci_u32_e32 v119, vcc_lo, s5, v115, vcc_lo
	v_fma_f64 v[110:111], v[110:111], v[120:121], v[116:117]
	global_load_b128 v[114:117], v[118:119], off
	v_add_co_u32 v118, vcc_lo, v118, s3
	v_add_co_ci_u32_e32 v119, vcc_lo, s2, v119, vcc_lo
	s_waitcnt vmcnt(0)
	v_mul_f64 v[42:43], v[116:117], v[128:129]
	v_mul_f64 v[120:121], v[114:115], v[128:129]
	s_delay_alu instid0(VALU_DEP_2) | instskip(NEXT) | instid1(VALU_DEP_2)
	v_fma_f64 v[114:115], v[114:115], v[126:127], v[42:43]
	v_fma_f64 v[116:117], v[116:117], v[126:127], -v[120:121]
	global_load_b128 v[126:129], v[40:41], off offset:1136
	global_load_b128 v[40:43], v[118:119], off
	v_add_co_u32 v118, vcc_lo, v118, s3
	v_add_co_ci_u32_e32 v119, vcc_lo, s2, v119, vcc_lo
	s_mov_b32 s2, 0x4755a5e
	s_mov_b32 s3, 0x3fe2cf23
	;; [unrolled: 1-line block ×3, first 2 shown]
	s_waitcnt vmcnt(0)
	v_mul_f64 v[122:123], v[40:41], v[128:129]
	v_mul_f64 v[120:121], v[42:43], v[128:129]
	s_delay_alu instid0(VALU_DEP_2)
	v_fma_f64 v[42:43], v[42:43], v[126:127], -v[122:123]
	v_add_co_u32 v122, vcc_lo, 0xe000, v174
	v_add_co_ci_u32_e32 v123, vcc_lo, 0, v49, vcc_lo
	scratch_store_b128 off, v[126:129], off offset:136 ; 16-byte Folded Spill
	v_fma_f64 v[40:41], v[40:41], v[126:127], v[120:121]
	v_cmp_gt_u16_e32 vcc_lo, 0x4b, v125
	scratch_store_b64 off, v[122:123], off offset:1812 ; 8-byte Folded Spill
	global_load_b128 v[118:121], v[118:119], off
	global_load_b128 v[128:131], v[122:123], off offset:656
	s_waitcnt vmcnt(0)
	v_mul_f64 v[122:123], v[120:121], v[130:131]
	v_mul_f64 v[126:127], v[118:119], v[130:131]
	scratch_store_b128 off, v[128:131], off offset:168 ; 16-byte Folded Spill
	v_fma_f64 v[118:119], v[118:119], v[128:129], v[122:123]
	v_fma_f64 v[120:121], v[120:121], v[128:129], -v[126:127]
	ds_store_b128 v48, v[0:3]
	ds_store_b128 v48, v[8:11] offset:20000
	ds_store_b128 v48, v[12:15] offset:40000
	ds_store_b128 v48, v[4:7] offset:2000
	ds_store_b128 v48, v[16:19] offset:22000
	ds_store_b128 v48, v[24:27] offset:42000
	ds_store_b128 v48, v[20:23] offset:4000
	ds_store_b128 v48, v[28:31] offset:24000
	ds_store_b128 v48, v[36:39] offset:44000
	ds_store_b128 v48, v[32:35] offset:6000
	ds_store_b128 v48, v[50:53] offset:26000
	ds_store_b128 v48, v[54:57] offset:46000
	ds_store_b128 v48, v[44:47] offset:8000
	ds_store_b128 v48, v[58:61] offset:28000
	ds_store_b128 v48, v[62:65] offset:48000
	ds_store_b128 v48, v[66:69] offset:10000
	ds_store_b128 v48, v[70:73] offset:30000
	ds_store_b128 v48, v[74:77] offset:50000
	ds_store_b128 v48, v[78:81] offset:12000
	ds_store_b128 v48, v[82:85] offset:32000
	ds_store_b128 v48, v[86:89] offset:52000
	ds_store_b128 v48, v[90:93] offset:14000
	ds_store_b128 v48, v[94:97] offset:34000
	ds_store_b128 v48, v[98:101] offset:54000
	ds_store_b128 v48, v[102:105] offset:16000
	ds_store_b128 v48, v[106:109] offset:36000
	ds_store_b128 v48, v[110:113] offset:56000
	ds_store_b128 v48, v[114:117] offset:18000
	ds_store_b128 v48, v[40:43] offset:38000
	ds_store_b128 v48, v[118:121] offset:58000
	s_load_b128 s[4:7], s[6:7], 0x0
	s_waitcnt lgkmcnt(0)
	s_waitcnt_vscnt null, 0x0
	s_barrier
	buffer_gl0_inv
	ds_load_b128 v[40:43], v48
	ds_load_b128 v[0:3], v48 offset:20000
	ds_load_b128 v[4:7], v48 offset:40000
	s_waitcnt lgkmcnt(1)
	v_add_f64 v[8:9], v[40:41], v[0:1]
	v_add_f64 v[10:11], v[42:43], v[2:3]
	s_waitcnt lgkmcnt(0)
	v_add_f64 v[86:87], v[0:1], v[4:5]
	v_add_f64 v[88:89], v[2:3], -v[6:7]
	v_add_f64 v[90:91], v[2:3], v[6:7]
	v_add_f64 v[92:93], v[0:1], -v[4:5]
	ds_load_b128 v[0:3], v48 offset:22000
	ds_load_b128 v[44:47], v48 offset:2000
	v_add_f64 v[28:29], v[8:9], v[4:5]
	v_add_f64 v[30:31], v[10:11], v[6:7]
	ds_load_b128 v[4:7], v48 offset:42000
	s_waitcnt lgkmcnt(1)
	v_add_f64 v[8:9], v[44:45], v[0:1]
	v_add_f64 v[10:11], v[46:47], v[2:3]
	v_fma_f64 v[40:41], v[86:87], -0.5, v[40:41]
	v_fma_f64 v[42:43], v[90:91], -0.5, v[42:43]
	s_waitcnt lgkmcnt(0)
	v_add_f64 v[94:95], v[0:1], v[4:5]
	v_add_f64 v[96:97], v[2:3], -v[6:7]
	v_add_f64 v[98:99], v[2:3], v[6:7]
	v_add_f64 v[100:101], v[0:1], -v[4:5]
	ds_load_b128 v[50:53], v48 offset:4000
	ds_load_b128 v[0:3], v48 offset:24000
	v_add_f64 v[20:21], v[8:9], v[4:5]
	v_add_f64 v[22:23], v[10:11], v[6:7]
	ds_load_b128 v[4:7], v48 offset:44000
	s_waitcnt lgkmcnt(1)
	v_add_f64 v[8:9], v[50:51], v[0:1]
	v_add_f64 v[10:11], v[52:53], v[2:3]
	v_fma_f64 v[44:45], v[94:95], -0.5, v[44:45]
	v_fma_f64 v[46:47], v[98:99], -0.5, v[46:47]
	s_waitcnt lgkmcnt(0)
	v_add_f64 v[102:103], v[0:1], v[4:5]
	v_add_f64 v[116:117], v[2:3], -v[6:7]
	v_add_f64 v[104:105], v[2:3], v[6:7]
	v_add_f64 v[118:119], v[0:1], -v[4:5]
	v_add_f64 v[0:1], v[8:9], v[4:5]
	v_add_f64 v[2:3], v[10:11], v[6:7]
	ds_load_b128 v[4:7], v48 offset:26000
	ds_load_b128 v[54:57], v48 offset:6000
	ds_load_b128 v[8:11], v48 offset:46000
	v_fma_f64 v[50:51], v[102:103], -0.5, v[50:51]
	v_fma_f64 v[52:53], v[104:105], -0.5, v[52:53]
	v_fma_f64 v[104:105], v[96:97], s[20:21], v[44:45]
	s_waitcnt lgkmcnt(1)
	v_add_f64 v[12:13], v[54:55], v[4:5]
	v_add_f64 v[14:15], v[56:57], v[6:7]
	s_waitcnt lgkmcnt(0)
	v_add_f64 v[106:107], v[4:5], v[8:9]
	v_add_f64 v[126:127], v[6:7], -v[10:11]
	v_add_f64 v[108:109], v[6:7], v[10:11]
	v_add_f64 v[128:129], v[4:5], -v[8:9]
	v_fma_f64 v[102:103], v[118:119], s[20:21], v[52:53]
	v_fma_f64 v[98:99], v[118:119], s[18:19], v[52:53]
	v_add_f64 v[4:5], v[12:13], v[8:9]
	v_add_f64 v[6:7], v[14:15], v[10:11]
	ds_load_b128 v[58:61], v48 offset:8000
	ds_load_b128 v[8:11], v48 offset:28000
	;; [unrolled: 1-line block ×3, first 2 shown]
	v_fma_f64 v[54:55], v[106:107], -0.5, v[54:55]
	v_fma_f64 v[56:57], v[108:109], -0.5, v[56:57]
	v_fma_f64 v[108:109], v[96:97], s[18:19], v[44:45]
	v_fma_f64 v[106:107], v[100:101], s[18:19], v[46:47]
	;; [unrolled: 1-line block ×3, first 2 shown]
	s_waitcnt lgkmcnt(1)
	v_add_f64 v[16:17], v[58:59], v[8:9]
	v_add_f64 v[18:19], v[60:61], v[10:11]
	s_waitcnt lgkmcnt(0)
	v_add_f64 v[110:111], v[8:9], v[12:13]
	v_add_f64 v[130:131], v[10:11], -v[14:15]
	v_add_f64 v[112:113], v[10:11], v[14:15]
	v_add_f64 v[132:133], v[8:9], -v[12:13]
	v_fma_f64 v[94:95], v[128:129], s[20:21], v[56:57]
	v_fma_f64 v[90:91], v[128:129], s[18:19], v[56:57]
	v_add_f64 v[8:9], v[16:17], v[12:13]
	v_add_f64 v[10:11], v[18:19], v[14:15]
	ds_load_b128 v[62:65], v48 offset:10000
	ds_load_b128 v[12:15], v48 offset:30000
	;; [unrolled: 1-line block ×3, first 2 shown]
	v_fma_f64 v[60:61], v[112:113], -0.5, v[60:61]
	v_fma_f64 v[112:113], v[88:89], s[20:21], v[40:41]
	v_fma_f64 v[58:59], v[110:111], -0.5, v[58:59]
	v_fma_f64 v[110:111], v[100:101], s[20:21], v[46:47]
	v_fma_f64 v[100:101], v[116:117], s[18:19], v[50:51]
	v_mul_lo_u16 v50, v125, 3
	s_delay_alu instid0(VALU_DEP_1) | instskip(NEXT) | instid1(VALU_DEP_1)
	v_and_b32_e32 v50, 0xffff, v50
	v_lshlrev_b32_e32 v50, 4, v50
	s_waitcnt lgkmcnt(1)
	v_add_f64 v[24:25], v[62:63], v[12:13]
	v_add_f64 v[26:27], v[64:65], v[14:15]
	s_waitcnt lgkmcnt(0)
	v_add_f64 v[114:115], v[12:13], v[16:17]
	v_add_f64 v[134:135], v[14:15], -v[18:19]
	v_add_f64 v[120:121], v[14:15], v[18:19]
	v_add_f64 v[136:137], v[12:13], -v[16:17]
	v_fma_f64 v[86:87], v[132:133], s[20:21], v[60:61]
	v_add_f64 v[12:13], v[24:25], v[16:17]
	v_add_f64 v[14:15], v[26:27], v[18:19]
	ds_load_b128 v[66:69], v48 offset:12000
	ds_load_b128 v[16:19], v48 offset:32000
	;; [unrolled: 1-line block ×3, first 2 shown]
	v_fma_f64 v[64:65], v[120:121], -0.5, v[64:65]
	v_fma_f64 v[120:121], v[88:89], s[18:19], v[40:41]
	v_fma_f64 v[62:63], v[114:115], -0.5, v[62:63]
	v_fma_f64 v[114:115], v[92:93], s[18:19], v[42:43]
	v_fma_f64 v[88:89], v[126:127], s[20:21], v[54:55]
	s_waitcnt lgkmcnt(1)
	v_add_f64 v[32:33], v[66:67], v[16:17]
	v_add_f64 v[34:35], v[68:69], v[18:19]
	s_waitcnt lgkmcnt(0)
	v_add_f64 v[122:123], v[16:17], v[24:25]
	v_add_f64 v[138:139], v[18:19], -v[26:27]
	v_add_f64 v[140:141], v[18:19], v[26:27]
	v_add_f64 v[142:143], v[16:17], -v[24:25]
	v_add_f64 v[16:17], v[32:33], v[24:25]
	v_add_f64 v[18:19], v[34:35], v[26:27]
	ds_load_b128 v[24:27], v48 offset:34000
	ds_load_b128 v[70:73], v48 offset:14000
	;; [unrolled: 1-line block ×3, first 2 shown]
	v_fma_f64 v[66:67], v[122:123], -0.5, v[66:67]
	v_fma_f64 v[122:123], v[92:93], s[20:21], v[42:43]
	v_fma_f64 v[140:141], v[140:141], -0.5, v[68:69]
	v_fma_f64 v[92:93], v[126:127], s[18:19], v[54:55]
	s_waitcnt lgkmcnt(1)
	v_add_f64 v[36:37], v[70:71], v[24:25]
	v_add_f64 v[38:39], v[72:73], v[26:27]
	s_waitcnt lgkmcnt(0)
	v_add_f64 v[144:145], v[24:25], v[32:33]
	v_add_f64 v[146:147], v[26:27], -v[34:35]
	v_add_f64 v[148:149], v[26:27], v[34:35]
	v_add_f64 v[150:151], v[24:25], -v[32:33]
	v_fma_f64 v[68:69], v[138:139], s[18:19], v[66:67]
	v_add_f64 v[24:25], v[36:37], v[32:33]
	v_add_f64 v[26:27], v[38:39], v[34:35]
	ds_load_b128 v[74:77], v48 offset:16000
	ds_load_b128 v[32:35], v48 offset:36000
	;; [unrolled: 1-line block ×3, first 2 shown]
	v_fma_f64 v[144:145], v[144:145], -0.5, v[70:71]
	v_fma_f64 v[148:149], v[148:149], -0.5, v[72:73]
	v_fma_f64 v[72:73], v[134:135], s[20:21], v[62:63]
	v_fma_f64 v[70:71], v[142:143], s[20:21], v[140:141]
	s_waitcnt lgkmcnt(1)
	v_add_f64 v[78:79], v[74:75], v[32:33]
	v_add_f64 v[80:81], v[76:77], v[34:35]
	s_waitcnt lgkmcnt(0)
	v_add_f64 v[152:153], v[32:33], v[36:37]
	v_add_f64 v[154:155], v[34:35], -v[38:39]
	v_add_f64 v[156:157], v[34:35], v[38:39]
	v_add_f64 v[158:159], v[32:33], -v[36:37]
	v_fma_f64 v[56:57], v[146:147], s[20:21], v[144:145]
	v_add_f64 v[32:33], v[78:79], v[36:37]
	v_add_f64 v[34:35], v[80:81], v[38:39]
	ds_load_b128 v[78:81], v48 offset:18000
	ds_load_b128 v[36:39], v48 offset:38000
	;; [unrolled: 1-line block ×3, first 2 shown]
	v_fma_f64 v[152:153], v[152:153], -0.5, v[74:75]
	scratch_store_b32 off, v50, off offset:964 ; 4-byte Folded Spill
	s_waitcnt lgkmcnt(0)
	s_waitcnt_vscnt null, 0x0
	s_barrier
	buffer_gl0_inv
	ds_store_b128 v50, v[28:31]
	ds_store_b128 v50, v[120:123] offset:16
	ds_store_b128 v50, v[112:115] offset:32
	v_fma_f64 v[156:157], v[156:157], -0.5, v[76:77]
	v_fma_f64 v[76:77], v[134:135], s[18:19], v[62:63]
	v_fma_f64 v[74:75], v[136:137], s[18:19], v[64:65]
	v_fma_f64 v[62:63], v[150:151], s[20:21], v[148:149]
	v_and_b32_e32 v112, 0xff, v125
	v_and_b32_e32 v115, 0xffff, v124
	;; [unrolled: 1-line block ×4, first 2 shown]
	v_add_f64 v[162:163], v[80:81], v[38:39]
	v_add_f64 v[160:161], v[78:79], v[36:37]
	;; [unrolled: 1-line block ×4, first 2 shown]
	v_add_f64 v[168:169], v[38:39], -v[84:85]
	v_add_f64 v[170:171], v[36:37], -v[82:83]
	v_fma_f64 v[52:53], v[154:155], s[18:19], v[152:153]
	v_fma_f64 v[116:117], v[154:155], s[20:21], v[152:153]
	v_add_co_u32 v153, null, 0x7d, v172
	v_add_co_u32 v154, null, 0xfa, v172
	v_fma_f64 v[54:55], v[158:159], s[20:21], v[156:157]
	s_delay_alu instid0(VALU_DEP_3) | instskip(SKIP_2) | instid1(VALU_DEP_3)
	v_mul_u32_u24_e32 v28, 3, v153
	v_fma_f64 v[118:119], v[158:159], s[18:19], v[156:157]
	v_mov_b32_e32 v152, v172
	v_lshlrev_b32_e32 v28, 4, v28
	ds_store_b128 v28, v[20:23]
	v_add_f64 v[38:39], v[162:163], v[84:85]
	v_fma_f64 v[84:85], v[130:131], s[18:19], v[58:59]
	v_add_f64 v[36:37], v[160:161], v[82:83]
	v_fma_f64 v[162:163], v[166:167], -0.5, v[80:81]
	v_fma_f64 v[80:81], v[130:131], s[20:21], v[58:59]
	v_fma_f64 v[82:83], v[132:133], s[18:19], v[60:61]
	v_mul_u32_u24_e32 v20, 3, v154
	v_fma_f64 v[160:161], v[164:165], -0.5, v[78:79]
	v_fma_f64 v[78:79], v[136:137], s[20:21], v[64:65]
	scratch_store_b32 off, v28, off offset:1116 ; 4-byte Folded Spill
	ds_store_b128 v28, v[108:111] offset:16
	ds_store_b128 v28, v[104:107] offset:32
	v_lshlrev_b32_e32 v20, 4, v20
	v_fma_f64 v[64:65], v[138:139], s[20:21], v[66:67]
	v_fma_f64 v[66:67], v[142:143], s[18:19], v[140:141]
	;; [unrolled: 1-line block ×4, first 2 shown]
	scratch_store_b32 off, v20, off offset:1048 ; 4-byte Folded Spill
	ds_store_b128 v20, v[0:3]
	ds_store_b128 v20, v[100:103] offset:16
	ds_store_b128 v20, v[96:99] offset:32
	v_mul_u32_u24_e32 v0, 3, v124
	v_and_b32_e32 v111, 0xff, v153
	v_and_b32_e32 v110, 0xffff, v154
	s_delay_alu instid0(VALU_DEP_3)
	v_lshlrev_b32_e32 v0, 4, v0
	scratch_store_b32 off, v0, off offset:1040 ; 4-byte Folded Spill
	ds_store_b128 v0, v[4:7]
	ds_store_b128 v0, v[92:95] offset:16
	ds_store_b128 v0, v[88:91] offset:32
	v_mul_u32_u24_e32 v0, 3, v200
	s_delay_alu instid0(VALU_DEP_1)
	v_lshlrev_b32_e32 v0, 4, v0
	scratch_store_b32 off, v0, off offset:1036 ; 4-byte Folded Spill
	ds_store_b128 v0, v[8:11]
	ds_store_b128 v0, v[84:87] offset:16
	ds_store_b128 v0, v[80:83] offset:32
	v_mul_u32_u24_e32 v0, 3, v203
	v_fma_f64 v[46:47], v[170:171], s[20:21], v[162:163]
	v_fma_f64 v[42:43], v[170:171], s[18:19], v[162:163]
	;; [unrolled: 1-line block ×4, first 2 shown]
	v_lshlrev_b32_e32 v0, 4, v0
	scratch_store_b32 off, v0, off offset:968 ; 4-byte Folded Spill
	ds_store_b128 v0, v[12:15]
	ds_store_b128 v0, v[76:79] offset:16
	ds_store_b128 v0, v[72:75] offset:32
	v_add_nc_u32_e32 v0, 0x2ee, v172
	s_delay_alu instid0(VALU_DEP_1) | instskip(NEXT) | instid1(VALU_DEP_1)
	v_mul_u32_u24_e32 v0, 3, v0
	v_lshlrev_b32_e32 v0, 4, v0
	scratch_store_b32 off, v0, off offset:960 ; 4-byte Folded Spill
	ds_store_b128 v0, v[16:19]
	ds_store_b128 v0, v[68:71] offset:16
	ds_store_b128 v0, v[64:67] offset:32
	v_add_nc_u32_e32 v0, 0x36b, v172
	s_delay_alu instid0(VALU_DEP_1) | instskip(NEXT) | instid1(VALU_DEP_1)
	v_mul_u32_u24_e32 v0, 3, v0
	;; [unrolled: 8-line block ×4, first 2 shown]
	v_lshlrev_b32_e32 v0, 4, v0
	scratch_store_b32 off, v0, off offset:816 ; 4-byte Folded Spill
	ds_store_b128 v0, v[36:39]
	ds_store_b128 v0, v[44:47] offset:16
	ds_store_b128 v0, v[40:43] offset:32
	v_mul_lo_u16 v0, 0xab, v112
	s_waitcnt lgkmcnt(0)
	s_waitcnt_vscnt null, 0x0
	s_barrier
	buffer_gl0_inv
	v_lshrrev_b16 v116, 9, v0
	s_delay_alu instid0(VALU_DEP_1) | instskip(NEXT) | instid1(VALU_DEP_1)
	v_mul_lo_u16 v0, v116, 3
	v_sub_nc_u16 v0, v125, v0
	s_delay_alu instid0(VALU_DEP_1)
	v_and_b32_e32 v117, 0xff, v0
	ds_load_b128 v[0:3], v48 offset:12000
	v_lshlrev_b32_e32 v6, 6, v117
	global_load_b128 v[7:10], v6, s[10:11]
	s_waitcnt vmcnt(0) lgkmcnt(0)
	v_mul_f64 v[4:5], v[2:3], v[9:10]
	scratch_store_b128 off, v[7:10], off offset:492 ; 16-byte Folded Spill
	v_fma_f64 v[12:13], v[0:1], v[7:8], -v[4:5]
	v_mul_f64 v[0:1], v[0:1], v[9:10]
	s_delay_alu instid0(VALU_DEP_1)
	v_fma_f64 v[14:15], v[2:3], v[7:8], v[0:1]
	global_load_b128 v[7:10], v6, s[10:11] offset:16
	ds_load_b128 v[0:3], v48 offset:24000
	s_waitcnt vmcnt(0) lgkmcnt(0)
	v_mul_f64 v[4:5], v[2:3], v[9:10]
	scratch_store_b128 off, v[7:10], off offset:508 ; 16-byte Folded Spill
	v_fma_f64 v[16:17], v[0:1], v[7:8], -v[4:5]
	v_mul_f64 v[0:1], v[0:1], v[9:10]
	s_delay_alu instid0(VALU_DEP_1)
	v_fma_f64 v[18:19], v[2:3], v[7:8], v[0:1]
	global_load_b128 v[7:10], v6, s[10:11] offset:32
	ds_load_b128 v[0:3], v48 offset:36000
	s_waitcnt vmcnt(0) lgkmcnt(0)
	v_mul_f64 v[4:5], v[2:3], v[9:10]
	scratch_store_b128 off, v[7:10], off offset:524 ; 16-byte Folded Spill
	v_fma_f64 v[20:21], v[0:1], v[7:8], -v[4:5]
	v_mul_f64 v[0:1], v[0:1], v[9:10]
	s_delay_alu instid0(VALU_DEP_2) | instskip(NEXT) | instid1(VALU_DEP_2)
	v_add_f64 v[140:141], v[16:17], -v[20:21]
	v_fma_f64 v[22:23], v[2:3], v[7:8], v[0:1]
	global_load_b128 v[6:9], v6, s[10:11] offset:48
	ds_load_b128 v[0:3], v48 offset:48000
	v_add_f64 v[136:137], v[18:19], -v[22:23]
	s_waitcnt vmcnt(0) lgkmcnt(0)
	v_mul_f64 v[4:5], v[2:3], v[8:9]
	scratch_store_b128 off, v[6:9], off offset:540 ; 16-byte Folded Spill
	v_fma_f64 v[24:25], v[0:1], v[6:7], -v[4:5]
	v_mul_f64 v[0:1], v[0:1], v[8:9]
	s_delay_alu instid0(VALU_DEP_2) | instskip(NEXT) | instid1(VALU_DEP_2)
	v_add_f64 v[138:139], v[12:13], -v[24:25]
	v_fma_f64 v[26:27], v[2:3], v[6:7], v[0:1]
	v_mul_lo_u16 v0, 0xab, v111
	s_delay_alu instid0(VALU_DEP_1) | instskip(NEXT) | instid1(VALU_DEP_1)
	v_lshrrev_b16 v118, 9, v0
	v_mul_lo_u16 v0, v118, 3
	s_delay_alu instid0(VALU_DEP_1) | instskip(NEXT) | instid1(VALU_DEP_1)
	v_sub_nc_u16 v0, v153, v0
	v_and_b32_e32 v119, 0xff, v0
	ds_load_b128 v[0:3], v48 offset:14000
	v_lshlrev_b32_e32 v6, 6, v119
	global_load_b128 v[7:10], v6, s[10:11]
	v_add_f64 v[134:135], v[14:15], -v[26:27]
	s_waitcnt vmcnt(0) lgkmcnt(0)
	v_mul_f64 v[4:5], v[2:3], v[9:10]
	scratch_store_b128 off, v[7:10], off offset:556 ; 16-byte Folded Spill
	v_fma_f64 v[30:31], v[0:1], v[7:8], -v[4:5]
	v_mul_f64 v[0:1], v[0:1], v[9:10]
	s_delay_alu instid0(VALU_DEP_1)
	v_fma_f64 v[28:29], v[2:3], v[7:8], v[0:1]
	global_load_b128 v[7:10], v6, s[10:11] offset:16
	ds_load_b128 v[0:3], v48 offset:26000
	s_waitcnt vmcnt(0) lgkmcnt(0)
	v_mul_f64 v[4:5], v[2:3], v[9:10]
	scratch_store_b128 off, v[7:10], off offset:572 ; 16-byte Folded Spill
	v_fma_f64 v[34:35], v[0:1], v[7:8], -v[4:5]
	v_mul_f64 v[0:1], v[0:1], v[9:10]
	s_delay_alu instid0(VALU_DEP_2) | instskip(NEXT) | instid1(VALU_DEP_2)
	v_add_f64 v[146:147], v[34:35], -v[30:31]
	v_fma_f64 v[32:33], v[2:3], v[7:8], v[0:1]
	global_load_b128 v[7:10], v6, s[10:11] offset:32
	ds_load_b128 v[0:3], v48 offset:38000
	s_waitcnt vmcnt(0) lgkmcnt(0)
	v_mul_f64 v[4:5], v[2:3], v[9:10]
	scratch_store_b128 off, v[7:10], off offset:588 ; 16-byte Folded Spill
	v_fma_f64 v[38:39], v[0:1], v[7:8], -v[4:5]
	v_mul_f64 v[0:1], v[0:1], v[9:10]
	s_delay_alu instid0(VALU_DEP_2) | instskip(NEXT) | instid1(VALU_DEP_2)
	v_add_f64 v[144:145], v[34:35], -v[38:39]
	;; [unrolled: 10-line block ×3, first 2 shown]
	v_fma_f64 v[106:107], v[2:3], v[6:7], v[0:1]
	v_mul_u32_u24_e32 v0, 0xaaab, v110
	s_delay_alu instid0(VALU_DEP_1) | instskip(NEXT) | instid1(VALU_DEP_1)
	v_lshrrev_b32_e32 v120, 17, v0
	v_mul_lo_u16 v0, v120, 3
	s_delay_alu instid0(VALU_DEP_1) | instskip(NEXT) | instid1(VALU_DEP_1)
	v_sub_nc_u16 v121, v154, v0
	v_lshlrev_b16 v0, 2, v121
	s_delay_alu instid0(VALU_DEP_1) | instskip(NEXT) | instid1(VALU_DEP_1)
	v_and_b32_e32 v0, 0xffff, v0
	v_lshlrev_b32_e32 v6, 4, v0
	ds_load_b128 v[0:3], v48 offset:16000
	global_load_b128 v[7:10], v6, s[10:11]
	s_waitcnt vmcnt(0) lgkmcnt(0)
	v_mul_f64 v[4:5], v[2:3], v[9:10]
	scratch_store_b128 off, v[7:10], off offset:620 ; 16-byte Folded Spill
	v_fma_f64 v[90:91], v[0:1], v[7:8], -v[4:5]
	v_mul_f64 v[0:1], v[0:1], v[9:10]
	s_delay_alu instid0(VALU_DEP_1)
	v_fma_f64 v[88:89], v[2:3], v[7:8], v[0:1]
	global_load_b128 v[7:10], v6, s[10:11] offset:16
	ds_load_b128 v[0:3], v48 offset:28000
	s_waitcnt vmcnt(0) lgkmcnt(0)
	v_mul_f64 v[4:5], v[2:3], v[9:10]
	scratch_store_b128 off, v[7:10], off offset:636 ; 16-byte Folded Spill
	v_fma_f64 v[98:99], v[0:1], v[7:8], -v[4:5]
	v_mul_f64 v[0:1], v[0:1], v[9:10]
	s_delay_alu instid0(VALU_DEP_2) | instskip(NEXT) | instid1(VALU_DEP_2)
	v_add_f64 v[150:151], v[98:99], -v[90:91]
	v_fma_f64 v[92:93], v[2:3], v[7:8], v[0:1]
	global_load_b128 v[7:10], v6, s[10:11] offset:32
	ds_load_b128 v[0:3], v48 offset:40000
	s_waitcnt vmcnt(0) lgkmcnt(0)
	v_mul_f64 v[4:5], v[2:3], v[9:10]
	scratch_store_b128 off, v[7:10], off offset:652 ; 16-byte Folded Spill
	v_fma_f64 v[96:97], v[0:1], v[7:8], -v[4:5]
	v_mul_f64 v[0:1], v[0:1], v[9:10]
	s_delay_alu instid0(VALU_DEP_2) | instskip(NEXT) | instid1(VALU_DEP_2)
	v_add_f64 v[148:149], v[98:99], -v[96:97]
	v_fma_f64 v[94:95], v[2:3], v[7:8], v[0:1]
	global_load_b128 v[6:9], v6, s[10:11] offset:48
	ds_load_b128 v[0:3], v48 offset:52000
	s_waitcnt vmcnt(0) lgkmcnt(0)
	v_mul_f64 v[4:5], v[2:3], v[8:9]
	scratch_store_b128 off, v[6:9], off offset:668 ; 16-byte Folded Spill
	v_fma_f64 v[100:101], v[0:1], v[6:7], -v[4:5]
	v_mul_f64 v[0:1], v[0:1], v[8:9]
	s_delay_alu instid0(VALU_DEP_1) | instskip(SKIP_1) | instid1(VALU_DEP_1)
	v_fma_f64 v[102:103], v[2:3], v[6:7], v[0:1]
	v_mul_u32_u24_e32 v0, 0xaaab, v115
	v_lshrrev_b32_e32 v122, 17, v0
	s_delay_alu instid0(VALU_DEP_1) | instskip(NEXT) | instid1(VALU_DEP_1)
	v_mul_lo_u16 v0, v122, 3
	v_sub_nc_u16 v123, v124, v0
	s_delay_alu instid0(VALU_DEP_1) | instskip(NEXT) | instid1(VALU_DEP_1)
	v_lshlrev_b16 v0, 2, v123
	v_and_b32_e32 v0, 0xffff, v0
	s_delay_alu instid0(VALU_DEP_1)
	v_lshlrev_b32_e32 v6, 4, v0
	ds_load_b128 v[0:3], v48 offset:18000
	global_load_b128 v[7:10], v6, s[10:11]
	s_waitcnt vmcnt(0) lgkmcnt(0)
	v_mul_f64 v[4:5], v[2:3], v[9:10]
	scratch_store_b128 off, v[7:10], off offset:684 ; 16-byte Folded Spill
	v_fma_f64 v[74:75], v[0:1], v[7:8], -v[4:5]
	v_mul_f64 v[0:1], v[0:1], v[9:10]
	s_delay_alu instid0(VALU_DEP_1)
	v_fma_f64 v[72:73], v[2:3], v[7:8], v[0:1]
	global_load_b128 v[7:10], v6, s[10:11] offset:16
	ds_load_b128 v[0:3], v48 offset:30000
	s_waitcnt vmcnt(0) lgkmcnt(0)
	v_mul_f64 v[4:5], v[2:3], v[9:10]
	scratch_store_b128 off, v[7:10], off offset:700 ; 16-byte Folded Spill
	v_fma_f64 v[80:81], v[0:1], v[7:8], -v[4:5]
	v_mul_f64 v[0:1], v[0:1], v[9:10]
	s_delay_alu instid0(VALU_DEP_2) | instskip(NEXT) | instid1(VALU_DEP_2)
	v_add_f64 v[157:158], v[80:81], -v[74:75]
	v_fma_f64 v[76:77], v[2:3], v[7:8], v[0:1]
	global_load_b128 v[7:10], v6, s[10:11] offset:32
	ds_load_b128 v[0:3], v48 offset:42000
	s_waitcnt vmcnt(0) lgkmcnt(0)
	v_mul_f64 v[4:5], v[2:3], v[9:10]
	scratch_store_b128 off, v[7:10], off offset:716 ; 16-byte Folded Spill
	v_fma_f64 v[82:83], v[0:1], v[7:8], -v[4:5]
	v_mul_f64 v[0:1], v[0:1], v[9:10]
	s_delay_alu instid0(VALU_DEP_2) | instskip(NEXT) | instid1(VALU_DEP_2)
	v_add_f64 v[155:156], v[80:81], -v[82:83]
	v_fma_f64 v[78:79], v[2:3], v[7:8], v[0:1]
	global_load_b128 v[6:9], v6, s[10:11] offset:48
	ds_load_b128 v[0:3], v48 offset:54000
	s_waitcnt vmcnt(0) lgkmcnt(0)
	v_mul_f64 v[4:5], v[2:3], v[8:9]
	scratch_store_b128 off, v[6:9], off offset:732 ; 16-byte Folded Spill
	v_fma_f64 v[84:85], v[0:1], v[6:7], -v[4:5]
	v_mul_f64 v[0:1], v[0:1], v[8:9]
	s_delay_alu instid0(VALU_DEP_1) | instskip(SKIP_1) | instid1(VALU_DEP_1)
	v_fma_f64 v[86:87], v[2:3], v[6:7], v[0:1]
	v_mul_u32_u24_e32 v0, 0xaaab, v114
	v_lshrrev_b32_e32 v126, 17, v0
	s_delay_alu instid0(VALU_DEP_1) | instskip(NEXT) | instid1(VALU_DEP_1)
	v_mul_lo_u16 v0, v126, 3
	v_sub_nc_u16 v127, v200, v0
	s_delay_alu instid0(VALU_DEP_1) | instskip(NEXT) | instid1(VALU_DEP_1)
	v_lshlrev_b16 v0, 2, v127
	v_and_b32_e32 v0, 0xffff, v0
	s_delay_alu instid0(VALU_DEP_1)
	;; [unrolled: 48-line block ×3, first 2 shown]
	v_lshlrev_b32_e32 v6, 4, v0
	ds_load_b128 v[0:3], v48 offset:22000
	global_load_b128 v[7:10], v6, s[10:11]
	s_waitcnt vmcnt(0) lgkmcnt(0)
	v_mul_f64 v[4:5], v[2:3], v[9:10]
	scratch_store_b128 off, v[7:10], off offset:820 ; 16-byte Folded Spill
	v_fma_f64 v[42:43], v[0:1], v[7:8], -v[4:5]
	v_mul_f64 v[0:1], v[0:1], v[9:10]
	s_delay_alu instid0(VALU_DEP_1)
	v_fma_f64 v[40:41], v[2:3], v[7:8], v[0:1]
	global_load_b128 v[7:10], v6, s[10:11] offset:16
	ds_load_b128 v[0:3], v48 offset:34000
	s_waitcnt vmcnt(0) lgkmcnt(0)
	v_mul_f64 v[4:5], v[2:3], v[9:10]
	scratch_store_b128 off, v[7:10], off offset:836 ; 16-byte Folded Spill
	v_fma_f64 v[50:51], v[0:1], v[7:8], -v[4:5]
	v_mul_f64 v[0:1], v[0:1], v[9:10]
	s_delay_alu instid0(VALU_DEP_2) | instskip(NEXT) | instid1(VALU_DEP_2)
	v_add_f64 v[165:166], v[50:51], -v[42:43]
	v_fma_f64 v[44:45], v[2:3], v[7:8], v[0:1]
	global_load_b128 v[7:10], v6, s[10:11] offset:32
	ds_load_b128 v[0:3], v48 offset:46000
	s_waitcnt vmcnt(0) lgkmcnt(0)
	v_mul_f64 v[4:5], v[2:3], v[9:10]
	scratch_store_b128 off, v[7:10], off offset:852 ; 16-byte Folded Spill
	v_fma_f64 v[108:109], v[0:1], v[7:8], -v[4:5]
	v_mul_f64 v[0:1], v[0:1], v[9:10]
	s_delay_alu instid0(VALU_DEP_2) | instskip(NEXT) | instid1(VALU_DEP_2)
	v_add_f64 v[163:164], v[50:51], -v[108:109]
	v_fma_f64 v[46:47], v[2:3], v[7:8], v[0:1]
	global_load_b128 v[6:9], v6, s[10:11] offset:48
	ds_load_b128 v[0:3], v48 offset:58000
	s_waitcnt vmcnt(0) lgkmcnt(0)
	v_mul_f64 v[4:5], v[2:3], v[8:9]
	scratch_store_b128 off, v[6:9], off offset:872 ; 16-byte Folded Spill
	v_fma_f64 v[52:53], v[0:1], v[6:7], -v[4:5]
	v_mul_f64 v[0:1], v[0:1], v[8:9]
	v_add_f64 v[4:5], v[26:27], -v[22:23]
	ds_load_b128 v[8:11], v48
	v_fma_f64 v[54:55], v[2:3], v[6:7], v[0:1]
	v_add_f64 v[0:1], v[12:13], -v[16:17]
	v_add_f64 v[2:3], v[24:25], -v[20:21]
	s_delay_alu instid0(VALU_DEP_1) | instskip(SKIP_1) | instid1(VALU_DEP_1)
	v_add_f64 v[0:1], v[0:1], v[2:3]
	v_add_f64 v[2:3], v[14:15], -v[18:19]
	v_add_f64 v[2:3], v[2:3], v[4:5]
	v_add_f64 v[4:5], v[16:17], v[20:21]
	s_waitcnt lgkmcnt(0)
	s_delay_alu instid0(VALU_DEP_1) | instskip(SKIP_1) | instid1(VALU_DEP_1)
	v_fma_f64 v[130:131], v[4:5], -0.5, v[8:9]
	v_add_f64 v[4:5], v[18:19], v[22:23]
	v_fma_f64 v[132:133], v[4:5], -0.5, v[10:11]
	s_delay_alu instid0(VALU_DEP_3) | instskip(SKIP_1) | instid1(VALU_DEP_3)
	v_fma_f64 v[4:5], v[134:135], s[12:13], v[130:131]
	v_fma_f64 v[130:131], v[134:135], s[14:15], v[130:131]
	;; [unrolled: 1-line block ×4, first 2 shown]
	s_delay_alu instid0(VALU_DEP_4) | instskip(NEXT) | instid1(VALU_DEP_4)
	v_fma_f64 v[4:5], v[136:137], s[2:3], v[4:5]
	v_fma_f64 v[130:131], v[136:137], s[8:9], v[130:131]
	s_delay_alu instid0(VALU_DEP_4) | instskip(NEXT) | instid1(VALU_DEP_4)
	v_fma_f64 v[6:7], v[140:141], s[8:9], v[6:7]
	v_fma_f64 v[132:133], v[140:141], s[2:3], v[132:133]
	s_delay_alu instid0(VALU_DEP_4) | instskip(NEXT) | instid1(VALU_DEP_4)
	v_fma_f64 v[4:5], v[0:1], s[16:17], v[4:5]
	v_fma_f64 v[0:1], v[0:1], s[16:17], v[130:131]
	v_add_f64 v[130:131], v[12:13], v[24:25]
	v_fma_f64 v[6:7], v[2:3], s[16:17], v[6:7]
	v_fma_f64 v[2:3], v[2:3], s[16:17], v[132:133]
	v_add_f64 v[132:133], v[14:15], v[26:27]
	s_delay_alu instid0(VALU_DEP_4) | instskip(SKIP_2) | instid1(VALU_DEP_4)
	v_fma_f64 v[130:131], v[130:131], -0.5, v[8:9]
	v_add_f64 v[8:9], v[8:9], v[12:13]
	v_add_f64 v[12:13], v[16:17], -v[12:13]
	v_fma_f64 v[132:133], v[132:133], -0.5, v[10:11]
	v_add_f64 v[10:11], v[10:11], v[14:15]
	v_add_f64 v[14:15], v[18:19], -v[14:15]
	v_add_f64 v[8:9], v[8:9], v[16:17]
	v_add_f64 v[16:17], v[20:21], -v[24:25]
	s_delay_alu instid0(VALU_DEP_4) | instskip(SKIP_1) | instid1(VALU_DEP_4)
	v_add_f64 v[10:11], v[10:11], v[18:19]
	v_add_f64 v[18:19], v[22:23], -v[26:27]
	v_add_f64 v[8:9], v[8:9], v[20:21]
	v_fma_f64 v[20:21], v[136:137], s[14:15], v[130:131]
	v_add_f64 v[12:13], v[12:13], v[16:17]
	v_add_f64 v[10:11], v[10:11], v[22:23]
	v_fma_f64 v[22:23], v[136:137], s[12:13], v[130:131]
	v_add_f64 v[8:9], v[8:9], v[24:25]
	v_fma_f64 v[24:25], v[140:141], s[12:13], v[132:133]
	;; [unrolled: 2-line block ×4, first 2 shown]
	v_fma_f64 v[20:21], v[134:135], s[8:9], v[22:23]
	v_fma_f64 v[18:19], v[138:139], s[8:9], v[24:25]
	v_add_f64 v[24:25], v[106:107], -v[36:37]
	v_fma_f64 v[16:17], v[12:13], s[16:17], v[16:17]
	ds_load_b128 v[130:133], v48 offset:2000
	v_add_f64 v[140:141], v[32:33], -v[36:37]
	v_fma_f64 v[22:23], v[138:139], s[2:3], v[26:27]
	v_fma_f64 v[12:13], v[12:13], s[16:17], v[20:21]
	;; [unrolled: 1-line block ×3, first 2 shown]
	v_add_f64 v[20:21], v[30:31], -v[34:35]
	v_add_f64 v[138:139], v[28:29], -v[106:107]
	v_fma_f64 v[14:15], v[14:15], s[16:17], v[22:23]
	v_add_f64 v[22:23], v[104:105], -v[38:39]
	s_delay_alu instid0(VALU_DEP_1) | instskip(SKIP_1) | instid1(VALU_DEP_1)
	v_add_f64 v[20:21], v[20:21], v[22:23]
	v_add_f64 v[22:23], v[28:29], -v[32:33]
	v_add_f64 v[22:23], v[22:23], v[24:25]
	v_add_f64 v[24:25], v[34:35], v[38:39]
	s_waitcnt lgkmcnt(0)
	s_delay_alu instid0(VALU_DEP_1) | instskip(SKIP_1) | instid1(VALU_DEP_1)
	v_fma_f64 v[134:135], v[24:25], -0.5, v[130:131]
	v_add_f64 v[24:25], v[32:33], v[36:37]
	v_fma_f64 v[136:137], v[24:25], -0.5, v[132:133]
	s_delay_alu instid0(VALU_DEP_3) | instskip(SKIP_1) | instid1(VALU_DEP_3)
	v_fma_f64 v[24:25], v[138:139], s[12:13], v[134:135]
	v_fma_f64 v[134:135], v[138:139], s[14:15], v[134:135]
	v_fma_f64 v[26:27], v[142:143], s[14:15], v[136:137]
	v_fma_f64 v[136:137], v[142:143], s[12:13], v[136:137]
	s_delay_alu instid0(VALU_DEP_4) | instskip(NEXT) | instid1(VALU_DEP_4)
	v_fma_f64 v[24:25], v[140:141], s[2:3], v[24:25]
	v_fma_f64 v[134:135], v[140:141], s[8:9], v[134:135]
	s_delay_alu instid0(VALU_DEP_4) | instskip(NEXT) | instid1(VALU_DEP_4)
	v_fma_f64 v[26:27], v[144:145], s[8:9], v[26:27]
	v_fma_f64 v[136:137], v[144:145], s[2:3], v[136:137]
	;; [unrolled: 3-line block ×3, first 2 shown]
	v_add_f64 v[134:135], v[30:31], v[104:105]
	v_fma_f64 v[26:27], v[22:23], s[16:17], v[26:27]
	v_fma_f64 v[22:23], v[22:23], s[16:17], v[136:137]
	v_add_f64 v[136:137], v[28:29], v[106:107]
	s_delay_alu instid0(VALU_DEP_4) | instskip(SKIP_1) | instid1(VALU_DEP_3)
	v_fma_f64 v[134:135], v[134:135], -0.5, v[130:131]
	v_add_f64 v[130:131], v[130:131], v[30:31]
	v_fma_f64 v[136:137], v[136:137], -0.5, v[132:133]
	v_add_f64 v[132:133], v[132:133], v[28:29]
	s_delay_alu instid0(VALU_DEP_3) | instskip(NEXT) | instid1(VALU_DEP_3)
	v_add_f64 v[30:31], v[130:131], v[34:35]
	v_fma_f64 v[130:131], v[144:145], s[14:15], v[136:137]
	s_delay_alu instid0(VALU_DEP_3) | instskip(SKIP_1) | instid1(VALU_DEP_4)
	v_add_f64 v[34:35], v[132:133], v[32:33]
	v_add_f64 v[32:33], v[32:33], -v[28:29]
	v_add_f64 v[28:29], v[30:31], v[38:39]
	s_delay_alu instid0(VALU_DEP_3) | instskip(SKIP_1) | instid1(VALU_DEP_3)
	v_add_f64 v[30:31], v[34:35], v[36:37]
	v_add_f64 v[34:35], v[38:39], -v[104:105]
	v_add_f64 v[28:29], v[28:29], v[104:105]
	v_add_f64 v[36:37], v[36:37], -v[106:107]
	v_fma_f64 v[38:39], v[140:141], s[14:15], v[134:135]
	v_fma_f64 v[104:105], v[140:141], s[12:13], v[134:135]
	v_add_f64 v[30:31], v[30:31], v[106:107]
	v_fma_f64 v[106:107], v[144:145], s[12:13], v[136:137]
	v_add_f64 v[34:35], v[146:147], v[34:35]
	v_add_f64 v[132:133], v[32:33], v[36:37]
	v_fma_f64 v[32:33], v[138:139], s[2:3], v[38:39]
	v_fma_f64 v[104:105], v[138:139], s[8:9], v[104:105]
	v_add_f64 v[144:145], v[92:93], -v[94:95]
	v_add_f64 v[146:147], v[90:91], -v[100:101]
	v_fma_f64 v[38:39], v[142:143], s[8:9], v[106:107]
	v_fma_f64 v[106:107], v[142:143], s[2:3], v[130:131]
	v_add_f64 v[130:131], v[98:99], v[96:97]
	v_fma_f64 v[36:37], v[34:35], s[16:17], v[32:33]
	v_fma_f64 v[32:33], v[34:35], s[16:17], v[104:105]
	v_add_f64 v[104:105], v[90:91], -v[98:99]
	v_add_f64 v[142:143], v[88:89], -v[102:103]
	v_fma_f64 v[38:39], v[132:133], s[16:17], v[38:39]
	v_fma_f64 v[34:35], v[132:133], s[16:17], v[106:107]
	v_add_f64 v[106:107], v[100:101], -v[96:97]
	s_delay_alu instid0(VALU_DEP_1) | instskip(SKIP_2) | instid1(VALU_DEP_1)
	v_add_f64 v[134:135], v[104:105], v[106:107]
	v_add_f64 v[104:105], v[88:89], -v[92:93]
	v_add_f64 v[106:107], v[102:103], -v[94:95]
	v_add_f64 v[136:137], v[104:105], v[106:107]
	ds_load_b128 v[104:107], v48 offset:4000
	s_waitcnt lgkmcnt(0)
	v_fma_f64 v[138:139], v[130:131], -0.5, v[104:105]
	v_add_f64 v[130:131], v[92:93], v[94:95]
	s_delay_alu instid0(VALU_DEP_1) | instskip(NEXT) | instid1(VALU_DEP_3)
	v_fma_f64 v[140:141], v[130:131], -0.5, v[106:107]
	v_fma_f64 v[130:131], v[142:143], s[12:13], v[138:139]
	v_fma_f64 v[138:139], v[142:143], s[14:15], v[138:139]
	s_delay_alu instid0(VALU_DEP_3) | instskip(NEXT) | instid1(VALU_DEP_3)
	v_fma_f64 v[132:133], v[146:147], s[14:15], v[140:141]
	v_fma_f64 v[130:131], v[144:145], s[2:3], v[130:131]
	;; [unrolled: 1-line block ×3, first 2 shown]
	s_delay_alu instid0(VALU_DEP_4) | instskip(NEXT) | instid1(VALU_DEP_4)
	v_fma_f64 v[138:139], v[144:145], s[8:9], v[138:139]
	v_fma_f64 v[132:133], v[148:149], s[8:9], v[132:133]
	s_delay_alu instid0(VALU_DEP_4) | instskip(NEXT) | instid1(VALU_DEP_4)
	v_fma_f64 v[130:131], v[134:135], s[16:17], v[130:131]
	v_fma_f64 v[140:141], v[148:149], s[2:3], v[140:141]
	s_delay_alu instid0(VALU_DEP_4) | instskip(SKIP_2) | instid1(VALU_DEP_4)
	v_fma_f64 v[134:135], v[134:135], s[16:17], v[138:139]
	v_add_f64 v[138:139], v[90:91], v[100:101]
	v_fma_f64 v[132:133], v[136:137], s[16:17], v[132:133]
	v_fma_f64 v[136:137], v[136:137], s[16:17], v[140:141]
	v_add_f64 v[140:141], v[88:89], v[102:103]
	s_delay_alu instid0(VALU_DEP_4) | instskip(SKIP_1) | instid1(VALU_DEP_3)
	v_fma_f64 v[138:139], v[138:139], -0.5, v[104:105]
	v_add_f64 v[104:105], v[104:105], v[90:91]
	v_fma_f64 v[140:141], v[140:141], -0.5, v[106:107]
	v_add_f64 v[106:107], v[106:107], v[88:89]
	s_delay_alu instid0(VALU_DEP_3) | instskip(NEXT) | instid1(VALU_DEP_3)
	v_add_f64 v[90:91], v[104:105], v[98:99]
	v_fma_f64 v[104:105], v[148:149], s[14:15], v[140:141]
	s_delay_alu instid0(VALU_DEP_3) | instskip(SKIP_1) | instid1(VALU_DEP_4)
	v_add_f64 v[98:99], v[106:107], v[92:93]
	v_add_f64 v[92:93], v[92:93], -v[88:89]
	v_add_f64 v[88:89], v[90:91], v[96:97]
	v_add_f64 v[96:97], v[96:97], -v[100:101]
	s_delay_alu instid0(VALU_DEP_4) | instskip(SKIP_1) | instid1(VALU_DEP_4)
	v_add_f64 v[90:91], v[98:99], v[94:95]
	v_add_f64 v[94:95], v[94:95], -v[102:103]
	v_add_f64 v[88:89], v[88:89], v[100:101]
	v_fma_f64 v[98:99], v[144:145], s[14:15], v[138:139]
	v_fma_f64 v[100:101], v[144:145], s[12:13], v[138:139]
	v_add_f64 v[96:97], v[150:151], v[96:97]
	v_add_f64 v[150:151], v[74:75], -v[84:85]
	v_add_f64 v[90:91], v[90:91], v[102:103]
	v_fma_f64 v[102:103], v[148:149], s[12:13], v[140:141]
	v_add_f64 v[106:107], v[92:93], v[94:95]
	v_fma_f64 v[92:93], v[142:143], s[2:3], v[98:99]
	v_fma_f64 v[98:99], v[142:143], s[8:9], v[100:101]
	;; [unrolled: 1-line block ×3, first 2 shown]
	v_add_f64 v[104:105], v[80:81], v[82:83]
	v_add_f64 v[148:149], v[76:77], -v[78:79]
	v_fma_f64 v[94:95], v[146:147], s[8:9], v[102:103]
	v_add_f64 v[102:103], v[84:85], -v[82:83]
	v_fma_f64 v[92:93], v[96:97], s[16:17], v[92:93]
	v_fma_f64 v[96:97], v[96:97], s[16:17], v[98:99]
	;; [unrolled: 1-line block ×3, first 2 shown]
	v_add_f64 v[100:101], v[74:75], -v[80:81]
	v_add_f64 v[146:147], v[72:73], -v[86:87]
	v_fma_f64 v[94:95], v[106:107], s[16:17], v[94:95]
	s_delay_alu instid0(VALU_DEP_3) | instskip(SKIP_2) | instid1(VALU_DEP_1)
	v_add_f64 v[138:139], v[100:101], v[102:103]
	v_add_f64 v[100:101], v[72:73], -v[76:77]
	v_add_f64 v[102:103], v[86:87], -v[78:79]
	v_add_f64 v[140:141], v[100:101], v[102:103]
	ds_load_b128 v[100:103], v48 offset:6000
	s_waitcnt lgkmcnt(0)
	v_fma_f64 v[142:143], v[104:105], -0.5, v[100:101]
	v_add_f64 v[104:105], v[76:77], v[78:79]
	s_delay_alu instid0(VALU_DEP_1) | instskip(NEXT) | instid1(VALU_DEP_3)
	v_fma_f64 v[144:145], v[104:105], -0.5, v[102:103]
	v_fma_f64 v[104:105], v[146:147], s[12:13], v[142:143]
	v_fma_f64 v[142:143], v[146:147], s[14:15], v[142:143]
	s_delay_alu instid0(VALU_DEP_3) | instskip(NEXT) | instid1(VALU_DEP_3)
	v_fma_f64 v[106:107], v[150:151], s[14:15], v[144:145]
	v_fma_f64 v[104:105], v[148:149], s[2:3], v[104:105]
	;; [unrolled: 1-line block ×3, first 2 shown]
	s_delay_alu instid0(VALU_DEP_4) | instskip(NEXT) | instid1(VALU_DEP_4)
	v_fma_f64 v[142:143], v[148:149], s[8:9], v[142:143]
	v_fma_f64 v[106:107], v[155:156], s[8:9], v[106:107]
	s_delay_alu instid0(VALU_DEP_4) | instskip(NEXT) | instid1(VALU_DEP_4)
	v_fma_f64 v[104:105], v[138:139], s[16:17], v[104:105]
	v_fma_f64 v[144:145], v[155:156], s[2:3], v[144:145]
	s_delay_alu instid0(VALU_DEP_4) | instskip(SKIP_2) | instid1(VALU_DEP_4)
	v_fma_f64 v[138:139], v[138:139], s[16:17], v[142:143]
	v_add_f64 v[142:143], v[74:75], v[84:85]
	v_fma_f64 v[106:107], v[140:141], s[16:17], v[106:107]
	v_fma_f64 v[140:141], v[140:141], s[16:17], v[144:145]
	v_add_f64 v[144:145], v[72:73], v[86:87]
	s_delay_alu instid0(VALU_DEP_4) | instskip(SKIP_1) | instid1(VALU_DEP_3)
	v_fma_f64 v[142:143], v[142:143], -0.5, v[100:101]
	v_add_f64 v[100:101], v[100:101], v[74:75]
	v_fma_f64 v[144:145], v[144:145], -0.5, v[102:103]
	v_add_f64 v[102:103], v[102:103], v[72:73]
	s_delay_alu instid0(VALU_DEP_3) | instskip(NEXT) | instid1(VALU_DEP_3)
	v_add_f64 v[74:75], v[100:101], v[80:81]
	v_fma_f64 v[100:101], v[155:156], s[14:15], v[144:145]
	s_delay_alu instid0(VALU_DEP_3) | instskip(SKIP_1) | instid1(VALU_DEP_4)
	v_add_f64 v[80:81], v[102:103], v[76:77]
	v_add_f64 v[76:77], v[76:77], -v[72:73]
	v_add_f64 v[72:73], v[74:75], v[82:83]
	s_delay_alu instid0(VALU_DEP_3) | instskip(SKIP_1) | instid1(VALU_DEP_3)
	v_add_f64 v[74:75], v[80:81], v[78:79]
	v_add_f64 v[80:81], v[82:83], -v[84:85]
	v_add_f64 v[72:73], v[72:73], v[84:85]
	v_add_f64 v[78:79], v[78:79], -v[86:87]
	v_fma_f64 v[82:83], v[148:149], s[14:15], v[142:143]
	v_fma_f64 v[84:85], v[148:149], s[12:13], v[142:143]
	v_add_f64 v[74:75], v[74:75], v[86:87]
	v_fma_f64 v[86:87], v[155:156], s[12:13], v[144:145]
	v_add_f64 v[80:81], v[157:158], v[80:81]
	v_add_f64 v[102:103], v[76:77], v[78:79]
	v_fma_f64 v[76:77], v[146:147], s[2:3], v[82:83]
	v_fma_f64 v[82:83], v[146:147], s[8:9], v[84:85]
	;; [unrolled: 1-line block ×3, first 2 shown]
	v_add_f64 v[100:101], v[66:67], v[64:65]
	v_add_f64 v[155:156], v[60:61], -v[62:63]
	v_add_f64 v[157:158], v[58:59], -v[68:69]
	v_fma_f64 v[78:79], v[150:151], s[8:9], v[86:87]
	v_add_f64 v[86:87], v[68:69], -v[64:65]
	v_add_f64 v[150:151], v[56:57], -v[70:71]
	v_fma_f64 v[76:77], v[80:81], s[16:17], v[76:77]
	v_fma_f64 v[80:81], v[80:81], s[16:17], v[82:83]
	;; [unrolled: 1-line block ×3, first 2 shown]
	v_add_f64 v[84:85], v[58:59], -v[66:67]
	v_fma_f64 v[78:79], v[102:103], s[16:17], v[78:79]
	s_delay_alu instid0(VALU_DEP_2) | instskip(SKIP_2) | instid1(VALU_DEP_1)
	v_add_f64 v[142:143], v[84:85], v[86:87]
	v_add_f64 v[84:85], v[56:57], -v[60:61]
	v_add_f64 v[86:87], v[70:71], -v[62:63]
	v_add_f64 v[144:145], v[84:85], v[86:87]
	ds_load_b128 v[84:87], v48 offset:8000
	s_waitcnt lgkmcnt(0)
	v_fma_f64 v[146:147], v[100:101], -0.5, v[84:85]
	v_add_f64 v[100:101], v[60:61], v[62:63]
	s_delay_alu instid0(VALU_DEP_1) | instskip(NEXT) | instid1(VALU_DEP_3)
	v_fma_f64 v[148:149], v[100:101], -0.5, v[86:87]
	v_fma_f64 v[100:101], v[150:151], s[12:13], v[146:147]
	v_fma_f64 v[146:147], v[150:151], s[14:15], v[146:147]
	s_delay_alu instid0(VALU_DEP_3) | instskip(NEXT) | instid1(VALU_DEP_3)
	v_fma_f64 v[102:103], v[157:158], s[14:15], v[148:149]
	v_fma_f64 v[100:101], v[155:156], s[2:3], v[100:101]
	;; [unrolled: 1-line block ×3, first 2 shown]
	s_delay_alu instid0(VALU_DEP_4) | instskip(NEXT) | instid1(VALU_DEP_4)
	v_fma_f64 v[146:147], v[155:156], s[8:9], v[146:147]
	v_fma_f64 v[102:103], v[159:160], s[8:9], v[102:103]
	s_delay_alu instid0(VALU_DEP_4) | instskip(NEXT) | instid1(VALU_DEP_4)
	v_fma_f64 v[100:101], v[142:143], s[16:17], v[100:101]
	v_fma_f64 v[148:149], v[159:160], s[2:3], v[148:149]
	s_delay_alu instid0(VALU_DEP_4) | instskip(SKIP_2) | instid1(VALU_DEP_4)
	v_fma_f64 v[142:143], v[142:143], s[16:17], v[146:147]
	v_add_f64 v[146:147], v[58:59], v[68:69]
	v_fma_f64 v[102:103], v[144:145], s[16:17], v[102:103]
	v_fma_f64 v[144:145], v[144:145], s[16:17], v[148:149]
	v_add_f64 v[148:149], v[56:57], v[70:71]
	s_delay_alu instid0(VALU_DEP_4) | instskip(SKIP_1) | instid1(VALU_DEP_3)
	v_fma_f64 v[146:147], v[146:147], -0.5, v[84:85]
	v_add_f64 v[84:85], v[84:85], v[58:59]
	v_fma_f64 v[148:149], v[148:149], -0.5, v[86:87]
	v_add_f64 v[86:87], v[86:87], v[56:57]
	s_delay_alu instid0(VALU_DEP_3) | instskip(NEXT) | instid1(VALU_DEP_3)
	v_add_f64 v[58:59], v[84:85], v[66:67]
	v_fma_f64 v[84:85], v[159:160], s[14:15], v[148:149]
	s_delay_alu instid0(VALU_DEP_3) | instskip(SKIP_1) | instid1(VALU_DEP_4)
	v_add_f64 v[66:67], v[86:87], v[60:61]
	v_add_f64 v[60:61], v[60:61], -v[56:57]
	v_add_f64 v[56:57], v[58:59], v[64:65]
	v_add_f64 v[64:65], v[64:65], -v[68:69]
	s_delay_alu instid0(VALU_DEP_4) | instskip(SKIP_1) | instid1(VALU_DEP_4)
	v_add_f64 v[58:59], v[66:67], v[62:63]
	v_add_f64 v[62:63], v[62:63], -v[70:71]
	v_add_f64 v[56:57], v[56:57], v[68:69]
	v_fma_f64 v[66:67], v[155:156], s[14:15], v[146:147]
	v_fma_f64 v[68:69], v[155:156], s[12:13], v[146:147]
	v_add_f64 v[64:65], v[161:162], v[64:65]
	v_add_f64 v[161:162], v[42:43], -v[52:53]
	v_add_f64 v[58:59], v[58:59], v[70:71]
	v_fma_f64 v[70:71], v[159:160], s[12:13], v[148:149]
	v_add_f64 v[86:87], v[60:61], v[62:63]
	v_fma_f64 v[60:61], v[150:151], s[2:3], v[66:67]
	v_fma_f64 v[66:67], v[150:151], s[8:9], v[68:69]
	;; [unrolled: 1-line block ×3, first 2 shown]
	v_add_f64 v[84:85], v[50:51], v[108:109]
	v_add_f64 v[159:160], v[44:45], -v[46:47]
	v_fma_f64 v[62:63], v[157:158], s[8:9], v[70:71]
	v_add_f64 v[70:71], v[52:53], -v[108:109]
	v_fma_f64 v[60:61], v[64:65], s[16:17], v[60:61]
	v_fma_f64 v[64:65], v[64:65], s[16:17], v[66:67]
	;; [unrolled: 1-line block ×3, first 2 shown]
	v_add_f64 v[68:69], v[42:43], -v[50:51]
	v_add_f64 v[157:158], v[40:41], -v[54:55]
	v_fma_f64 v[62:63], v[86:87], s[16:17], v[62:63]
	s_delay_alu instid0(VALU_DEP_3) | instskip(SKIP_2) | instid1(VALU_DEP_1)
	v_add_f64 v[146:147], v[68:69], v[70:71]
	v_add_f64 v[68:69], v[40:41], -v[44:45]
	v_add_f64 v[70:71], v[54:55], -v[46:47]
	v_add_f64 v[148:149], v[68:69], v[70:71]
	ds_load_b128 v[68:71], v48 offset:10000
	s_waitcnt lgkmcnt(0)
	v_fma_f64 v[150:151], v[84:85], -0.5, v[68:69]
	v_add_f64 v[84:85], v[44:45], v[46:47]
	s_delay_alu instid0(VALU_DEP_1) | instskip(NEXT) | instid1(VALU_DEP_3)
	v_fma_f64 v[155:156], v[84:85], -0.5, v[70:71]
	v_fma_f64 v[84:85], v[157:158], s[12:13], v[150:151]
	v_fma_f64 v[150:151], v[157:158], s[14:15], v[150:151]
	s_delay_alu instid0(VALU_DEP_3) | instskip(SKIP_1) | instid1(VALU_DEP_4)
	v_fma_f64 v[86:87], v[161:162], s[14:15], v[155:156]
	v_fma_f64 v[155:156], v[161:162], s[12:13], v[155:156]
	;; [unrolled: 1-line block ×3, first 2 shown]
	s_delay_alu instid0(VALU_DEP_4) | instskip(NEXT) | instid1(VALU_DEP_4)
	v_fma_f64 v[150:151], v[159:160], s[8:9], v[150:151]
	v_fma_f64 v[86:87], v[163:164], s[8:9], v[86:87]
	s_delay_alu instid0(VALU_DEP_4) | instskip(NEXT) | instid1(VALU_DEP_4)
	v_fma_f64 v[155:156], v[163:164], s[2:3], v[155:156]
	v_fma_f64 v[84:85], v[146:147], s[16:17], v[84:85]
	s_delay_alu instid0(VALU_DEP_4) | instskip(SKIP_4) | instid1(VALU_DEP_4)
	v_fma_f64 v[146:147], v[146:147], s[16:17], v[150:151]
	v_add_f64 v[150:151], v[42:43], v[52:53]
	v_fma_f64 v[86:87], v[148:149], s[16:17], v[86:87]
	v_fma_f64 v[148:149], v[148:149], s[16:17], v[155:156]
	v_add_f64 v[155:156], v[40:41], v[54:55]
	v_fma_f64 v[150:151], v[150:151], -0.5, v[68:69]
	v_add_f64 v[68:69], v[68:69], v[42:43]
	s_delay_alu instid0(VALU_DEP_3) | instskip(SKIP_1) | instid1(VALU_DEP_3)
	v_fma_f64 v[155:156], v[155:156], -0.5, v[70:71]
	v_add_f64 v[70:71], v[70:71], v[40:41]
	v_add_f64 v[42:43], v[68:69], v[50:51]
	s_delay_alu instid0(VALU_DEP_3) | instskip(NEXT) | instid1(VALU_DEP_3)
	v_fma_f64 v[68:69], v[163:164], s[12:13], v[155:156]
	v_add_f64 v[50:51], v[70:71], v[44:45]
	v_add_f64 v[44:45], v[44:45], -v[40:41]
	s_delay_alu instid0(VALU_DEP_4) | instskip(SKIP_1) | instid1(VALU_DEP_4)
	v_add_f64 v[40:41], v[42:43], v[108:109]
	v_fma_f64 v[70:71], v[163:164], s[14:15], v[155:156]
	v_add_f64 v[42:43], v[50:51], v[46:47]
	v_add_f64 v[50:51], v[108:109], -v[52:53]
	s_delay_alu instid0(VALU_DEP_4)
	v_add_f64 v[40:41], v[40:41], v[52:53]
	v_add_f64 v[46:47], v[46:47], -v[54:55]
	v_fma_f64 v[52:53], v[159:160], s[14:15], v[150:151]
	v_add_f64 v[42:43], v[42:43], v[54:55]
	v_fma_f64 v[54:55], v[159:160], s[12:13], v[150:151]
	v_add_f64 v[50:51], v[165:166], v[50:51]
	v_add_f64 v[108:109], v[44:45], v[46:47]
	v_fma_f64 v[44:45], v[157:158], s[2:3], v[52:53]
	v_fma_f64 v[46:47], v[161:162], s[8:9], v[68:69]
	;; [unrolled: 1-line block ×4, first 2 shown]
	s_delay_alu instid0(VALU_DEP_4) | instskip(NEXT) | instid1(VALU_DEP_4)
	v_fma_f64 v[44:45], v[50:51], s[16:17], v[44:45]
	v_fma_f64 v[46:47], v[108:109], s[16:17], v[46:47]
	s_delay_alu instid0(VALU_DEP_4) | instskip(NEXT) | instid1(VALU_DEP_4)
	v_fma_f64 v[50:51], v[50:51], s[16:17], v[52:53]
	v_fma_f64 v[52:53], v[108:109], s[16:17], v[54:55]
	v_and_b32_e32 v54, 0xffff, v116
	s_delay_alu instid0(VALU_DEP_1) | instskip(NEXT) | instid1(VALU_DEP_1)
	v_mul_u32_u24_e32 v54, 15, v54
	v_add_lshl_u32 v54, v54, v117, 4
	scratch_store_b32 off, v54, off offset:1324 ; 4-byte Folded Spill
	s_waitcnt_vscnt null, 0x0
	s_barrier
	buffer_gl0_inv
	ds_store_b128 v54, v[8:11]
	ds_store_b128 v54, v[4:7] offset:48
	ds_store_b128 v54, v[16:19] offset:96
	;; [unrolled: 1-line block ×4, first 2 shown]
	v_and_b32_e32 v0, 0xffff, v118
	s_delay_alu instid0(VALU_DEP_1) | instskip(NEXT) | instid1(VALU_DEP_1)
	v_mul_u32_u24_e32 v0, 15, v0
	v_add_lshl_u32 v0, v0, v119, 4
	scratch_store_b32 off, v0, off offset:1188 ; 4-byte Folded Spill
	ds_store_b128 v0, v[28:31]
	ds_store_b128 v0, v[24:27] offset:48
	ds_store_b128 v0, v[36:39] offset:96
	ds_store_b128 v0, v[32:35] offset:144
	ds_store_b128 v0, v[20:23] offset:192
	v_mad_u16 v0, v120, 15, v121
	s_delay_alu instid0(VALU_DEP_1) | instskip(NEXT) | instid1(VALU_DEP_1)
	v_and_b32_e32 v0, 0xffff, v0
	v_lshlrev_b32_e32 v0, 4, v0
	scratch_store_b32 off, v0, off offset:1120 ; 4-byte Folded Spill
	ds_store_b128 v0, v[88:91]
	ds_store_b128 v0, v[130:133] offset:48
	ds_store_b128 v0, v[92:95] offset:96
	ds_store_b128 v0, v[96:99] offset:144
	ds_store_b128 v0, v[134:137] offset:192
	v_mad_u16 v0, v122, 15, v123
	s_delay_alu instid0(VALU_DEP_1) | instskip(NEXT) | instid1(VALU_DEP_1)
	v_and_b32_e32 v0, 0xffff, v0
	v_lshlrev_b32_e32 v0, 4, v0
	;; [unrolled: 10-line block ×4, first 2 shown]
	scratch_store_b32 off, v0, off offset:812 ; 4-byte Folded Spill
	ds_store_b128 v0, v[40:43]
	ds_store_b128 v0, v[84:87] offset:48
	ds_store_b128 v0, v[44:47] offset:96
	ds_store_b128 v0, v[50:53] offset:144
	ds_store_b128 v0, v[146:149] offset:192
	v_mul_lo_u16 v0, 0x89, v112
	s_waitcnt lgkmcnt(0)
	s_waitcnt_vscnt null, 0x0
	s_barrier
	buffer_gl0_inv
	v_lshrrev_b16 v106, 11, v0
	s_delay_alu instid0(VALU_DEP_1) | instskip(NEXT) | instid1(VALU_DEP_1)
	v_mul_lo_u16 v0, v106, 15
	v_sub_nc_u16 v0, v125, v0
	s_delay_alu instid0(VALU_DEP_1)
	v_and_b32_e32 v107, 0xff, v0
	ds_load_b128 v[0:3], v48 offset:12000
	v_lshlrev_b32_e32 v6, 6, v107
	global_load_b128 v[7:10], v6, s[10:11] offset:192
	s_waitcnt vmcnt(0) lgkmcnt(0)
	v_mul_f64 v[4:5], v[2:3], v[9:10]
	scratch_store_b128 off, v[7:10], off offset:888 ; 16-byte Folded Spill
	v_fma_f64 v[12:13], v[0:1], v[7:8], -v[4:5]
	v_mul_f64 v[0:1], v[0:1], v[9:10]
	s_delay_alu instid0(VALU_DEP_1)
	v_fma_f64 v[14:15], v[2:3], v[7:8], v[0:1]
	global_load_b128 v[7:10], v6, s[10:11] offset:208
	ds_load_b128 v[0:3], v48 offset:24000
	s_waitcnt vmcnt(0) lgkmcnt(0)
	v_mul_f64 v[4:5], v[2:3], v[9:10]
	scratch_store_b128 off, v[7:10], off offset:904 ; 16-byte Folded Spill
	v_fma_f64 v[16:17], v[0:1], v[7:8], -v[4:5]
	v_mul_f64 v[0:1], v[0:1], v[9:10]
	s_delay_alu instid0(VALU_DEP_1)
	v_fma_f64 v[18:19], v[2:3], v[7:8], v[0:1]
	global_load_b128 v[7:10], v6, s[10:11] offset:224
	ds_load_b128 v[0:3], v48 offset:36000
	s_waitcnt vmcnt(0) lgkmcnt(0)
	v_mul_f64 v[4:5], v[2:3], v[9:10]
	scratch_store_b128 off, v[7:10], off offset:920 ; 16-byte Folded Spill
	v_fma_f64 v[20:21], v[0:1], v[7:8], -v[4:5]
	v_mul_f64 v[0:1], v[0:1], v[9:10]
	s_delay_alu instid0(VALU_DEP_2) | instskip(NEXT) | instid1(VALU_DEP_2)
	v_add_f64 v[136:137], v[16:17], -v[20:21]
	v_fma_f64 v[22:23], v[2:3], v[7:8], v[0:1]
	global_load_b128 v[6:9], v6, s[10:11] offset:240
	ds_load_b128 v[0:3], v48 offset:48000
	v_add_f64 v[132:133], v[18:19], -v[22:23]
	s_waitcnt vmcnt(0) lgkmcnt(0)
	v_mul_f64 v[4:5], v[2:3], v[8:9]
	scratch_store_b128 off, v[6:9], off offset:936 ; 16-byte Folded Spill
	v_fma_f64 v[24:25], v[0:1], v[6:7], -v[4:5]
	v_mul_f64 v[0:1], v[0:1], v[8:9]
	s_delay_alu instid0(VALU_DEP_2) | instskip(NEXT) | instid1(VALU_DEP_2)
	v_add_f64 v[134:135], v[12:13], -v[24:25]
	v_fma_f64 v[26:27], v[2:3], v[6:7], v[0:1]
	v_mul_lo_u16 v0, 0x89, v111
	s_delay_alu instid0(VALU_DEP_1) | instskip(NEXT) | instid1(VALU_DEP_1)
	v_lshrrev_b16 v108, 11, v0
	v_mul_lo_u16 v0, v108, 15
	s_delay_alu instid0(VALU_DEP_1) | instskip(NEXT) | instid1(VALU_DEP_1)
	v_sub_nc_u16 v0, v153, v0
	v_and_b32_e32 v109, 0xff, v0
	ds_load_b128 v[0:3], v48 offset:14000
	v_lshlrev_b32_e32 v6, 6, v109
	global_load_b128 v[7:10], v6, s[10:11] offset:192
	v_add_f64 v[130:131], v[14:15], -v[26:27]
	s_waitcnt vmcnt(0) lgkmcnt(0)
	v_mul_f64 v[4:5], v[2:3], v[9:10]
	scratch_store_b128 off, v[7:10], off offset:972 ; 16-byte Folded Spill
	v_fma_f64 v[32:33], v[0:1], v[7:8], -v[4:5]
	v_mul_f64 v[0:1], v[0:1], v[9:10]
	s_delay_alu instid0(VALU_DEP_1)
	v_fma_f64 v[34:35], v[2:3], v[7:8], v[0:1]
	global_load_b128 v[7:10], v6, s[10:11] offset:208
	ds_load_b128 v[0:3], v48 offset:26000
	s_waitcnt vmcnt(0) lgkmcnt(0)
	v_mul_f64 v[4:5], v[2:3], v[9:10]
	scratch_store_b128 off, v[7:10], off offset:988 ; 16-byte Folded Spill
	v_fma_f64 v[36:37], v[0:1], v[7:8], -v[4:5]
	v_mul_f64 v[0:1], v[0:1], v[9:10]
	s_delay_alu instid0(VALU_DEP_1)
	v_fma_f64 v[38:39], v[2:3], v[7:8], v[0:1]
	global_load_b128 v[7:10], v6, s[10:11] offset:224
	ds_load_b128 v[0:3], v48 offset:38000
	s_waitcnt vmcnt(0) lgkmcnt(0)
	v_mul_f64 v[4:5], v[2:3], v[9:10]
	scratch_store_b128 off, v[7:10], off offset:1004 ; 16-byte Folded Spill
	v_fma_f64 v[120:121], v[0:1], v[7:8], -v[4:5]
	v_mul_f64 v[0:1], v[0:1], v[9:10]
	s_delay_alu instid0(VALU_DEP_2) | instskip(NEXT) | instid1(VALU_DEP_2)
	v_add_f64 v[140:141], v[36:37], -v[120:121]
	v_fma_f64 v[122:123], v[2:3], v[7:8], v[0:1]
	global_load_b128 v[6:9], v6, s[10:11] offset:240
	ds_load_b128 v[0:3], v48 offset:50000
	s_waitcnt vmcnt(0) lgkmcnt(0)
	v_mul_f64 v[4:5], v[2:3], v[8:9]
	scratch_store_b128 off, v[6:9], off offset:1020 ; 16-byte Folded Spill
	v_fma_f64 v[126:127], v[0:1], v[6:7], -v[4:5]
	v_mul_f64 v[0:1], v[0:1], v[8:9]
	s_delay_alu instid0(VALU_DEP_2) | instskip(NEXT) | instid1(VALU_DEP_2)
	v_add_f64 v[138:139], v[32:33], -v[126:127]
	v_fma_f64 v[128:129], v[2:3], v[6:7], v[0:1]
	v_mul_u32_u24_e32 v0, 0x8889, v110
	s_delay_alu instid0(VALU_DEP_1) | instskip(NEXT) | instid1(VALU_DEP_1)
	v_lshrrev_b32_e32 v112, 19, v0
	v_mul_lo_u16 v0, v112, 15
	s_delay_alu instid0(VALU_DEP_1) | instskip(NEXT) | instid1(VALU_DEP_1)
	v_sub_nc_u16 v116, v154, v0
	v_lshlrev_b16 v0, 6, v116
	s_delay_alu instid0(VALU_DEP_1) | instskip(NEXT) | instid1(VALU_DEP_1)
	v_and_b32_e32 v0, 0xffff, v0
	v_add_co_u32 v4, s22, s10, v0
	s_delay_alu instid0(VALU_DEP_1)
	v_add_co_ci_u32_e64 v5, null, s11, 0, s22
	ds_load_b128 v[0:3], v48 offset:16000
	global_load_b128 v[8:11], v[4:5], off offset:192
	s_waitcnt vmcnt(0) lgkmcnt(0)
	v_mul_f64 v[6:7], v[2:3], v[10:11]
	scratch_store_b128 off, v[8:11], off offset:1052 ; 16-byte Folded Spill
	v_fma_f64 v[90:91], v[0:1], v[8:9], -v[6:7]
	v_mul_f64 v[0:1], v[0:1], v[10:11]
	s_delay_alu instid0(VALU_DEP_1)
	v_fma_f64 v[88:89], v[2:3], v[8:9], v[0:1]
	global_load_b128 v[8:11], v[4:5], off offset:208
	ds_load_b128 v[0:3], v48 offset:28000
	s_waitcnt vmcnt(0) lgkmcnt(0)
	v_mul_f64 v[6:7], v[2:3], v[10:11]
	scratch_store_b128 off, v[8:11], off offset:1068 ; 16-byte Folded Spill
	v_fma_f64 v[98:99], v[0:1], v[8:9], -v[6:7]
	v_mul_f64 v[0:1], v[0:1], v[10:11]
	s_delay_alu instid0(VALU_DEP_2) | instskip(NEXT) | instid1(VALU_DEP_2)
	v_add_f64 v[146:147], v[98:99], -v[90:91]
	v_fma_f64 v[92:93], v[2:3], v[8:9], v[0:1]
	global_load_b128 v[8:11], v[4:5], off offset:224
	ds_load_b128 v[0:3], v48 offset:40000
	s_waitcnt vmcnt(0) lgkmcnt(0)
	v_mul_f64 v[6:7], v[2:3], v[10:11]
	scratch_store_b128 off, v[8:11], off offset:1084 ; 16-byte Folded Spill
	v_fma_f64 v[96:97], v[0:1], v[8:9], -v[6:7]
	v_mul_f64 v[0:1], v[0:1], v[10:11]
	s_delay_alu instid0(VALU_DEP_2) | instskip(NEXT) | instid1(VALU_DEP_2)
	v_add_f64 v[144:145], v[98:99], -v[96:97]
	;; [unrolled: 10-line block ×3, first 2 shown]
	v_fma_f64 v[102:103], v[2:3], v[6:7], v[0:1]
	v_mul_u32_u24_e32 v0, 0x8889, v115
	s_delay_alu instid0(VALU_DEP_1) | instskip(NEXT) | instid1(VALU_DEP_1)
	v_lshrrev_b32_e32 v115, 19, v0
	v_mul_lo_u16 v0, v115, 15
	s_delay_alu instid0(VALU_DEP_1) | instskip(NEXT) | instid1(VALU_DEP_1)
	v_sub_nc_u16 v117, v124, v0
	v_lshlrev_b16 v0, 6, v117
	s_delay_alu instid0(VALU_DEP_1) | instskip(NEXT) | instid1(VALU_DEP_1)
	v_and_b32_e32 v0, 0xffff, v0
	v_add_co_u32 v4, s22, s10, v0
	s_delay_alu instid0(VALU_DEP_1)
	v_add_co_ci_u32_e64 v5, null, s11, 0, s22
	ds_load_b128 v[0:3], v48 offset:18000
	global_load_b128 v[8:11], v[4:5], off offset:192
	s_waitcnt vmcnt(0) lgkmcnt(0)
	v_mul_f64 v[6:7], v[2:3], v[10:11]
	scratch_store_b128 off, v[8:11], off offset:1124 ; 16-byte Folded Spill
	v_fma_f64 v[74:75], v[0:1], v[8:9], -v[6:7]
	v_mul_f64 v[0:1], v[0:1], v[10:11]
	s_delay_alu instid0(VALU_DEP_1)
	v_fma_f64 v[72:73], v[2:3], v[8:9], v[0:1]
	global_load_b128 v[8:11], v[4:5], off offset:208
	ds_load_b128 v[0:3], v48 offset:30000
	s_waitcnt vmcnt(0) lgkmcnt(0)
	v_mul_f64 v[6:7], v[2:3], v[10:11]
	scratch_store_b128 off, v[8:11], off offset:1140 ; 16-byte Folded Spill
	v_fma_f64 v[80:81], v[0:1], v[8:9], -v[6:7]
	v_mul_f64 v[0:1], v[0:1], v[10:11]
	s_delay_alu instid0(VALU_DEP_2) | instskip(NEXT) | instid1(VALU_DEP_2)
	v_add_f64 v[150:151], v[80:81], -v[74:75]
	v_fma_f64 v[76:77], v[2:3], v[8:9], v[0:1]
	global_load_b128 v[8:11], v[4:5], off offset:224
	ds_load_b128 v[0:3], v48 offset:42000
	s_waitcnt vmcnt(0) lgkmcnt(0)
	v_mul_f64 v[6:7], v[2:3], v[10:11]
	scratch_store_b128 off, v[8:11], off offset:1156 ; 16-byte Folded Spill
	v_fma_f64 v[82:83], v[0:1], v[8:9], -v[6:7]
	v_mul_f64 v[0:1], v[0:1], v[10:11]
	s_delay_alu instid0(VALU_DEP_2) | instskip(NEXT) | instid1(VALU_DEP_2)
	v_add_f64 v[148:149], v[80:81], -v[82:83]
	v_fma_f64 v[78:79], v[2:3], v[8:9], v[0:1]
	global_load_b128 v[6:9], v[4:5], off offset:240
	ds_load_b128 v[0:3], v48 offset:54000
	s_waitcnt vmcnt(0) lgkmcnt(0)
	v_mul_f64 v[4:5], v[2:3], v[8:9]
	scratch_store_b128 off, v[6:9], off offset:1172 ; 16-byte Folded Spill
	v_fma_f64 v[84:85], v[0:1], v[6:7], -v[4:5]
	v_mul_f64 v[0:1], v[0:1], v[8:9]
	s_delay_alu instid0(VALU_DEP_1) | instskip(SKIP_1) | instid1(VALU_DEP_1)
	v_fma_f64 v[86:87], v[2:3], v[6:7], v[0:1]
	v_mul_u32_u24_e32 v0, 0x8889, v114
	v_lshrrev_b32_e32 v114, 19, v0
	s_delay_alu instid0(VALU_DEP_1) | instskip(NEXT) | instid1(VALU_DEP_1)
	v_mul_lo_u16 v0, v114, 15
	v_sub_nc_u16 v118, v200, v0
	s_delay_alu instid0(VALU_DEP_1) | instskip(NEXT) | instid1(VALU_DEP_1)
	v_lshlrev_b16 v0, 6, v118
	v_and_b32_e32 v0, 0xffff, v0
	s_delay_alu instid0(VALU_DEP_1) | instskip(NEXT) | instid1(VALU_DEP_1)
	v_add_co_u32 v4, s22, s10, v0
	v_add_co_ci_u32_e64 v5, null, s11, 0, s22
	ds_load_b128 v[0:3], v48 offset:20000
	global_load_b128 v[8:11], v[4:5], off offset:192
	s_waitcnt vmcnt(0) lgkmcnt(0)
	v_mul_f64 v[6:7], v[2:3], v[10:11]
	scratch_store_b128 off, v[8:11], off offset:1196 ; 16-byte Folded Spill
	v_fma_f64 v[58:59], v[0:1], v[8:9], -v[6:7]
	v_mul_f64 v[0:1], v[0:1], v[10:11]
	s_delay_alu instid0(VALU_DEP_1)
	v_fma_f64 v[56:57], v[2:3], v[8:9], v[0:1]
	global_load_b128 v[8:11], v[4:5], off offset:208
	ds_load_b128 v[0:3], v48 offset:32000
	s_waitcnt vmcnt(0) lgkmcnt(0)
	v_mul_f64 v[6:7], v[2:3], v[10:11]
	scratch_store_b128 off, v[8:11], off offset:1212 ; 16-byte Folded Spill
	v_fma_f64 v[66:67], v[0:1], v[8:9], -v[6:7]
	v_mul_f64 v[0:1], v[0:1], v[10:11]
	s_delay_alu instid0(VALU_DEP_2) | instskip(NEXT) | instid1(VALU_DEP_2)
	v_add_f64 v[157:158], v[66:67], -v[58:59]
	v_fma_f64 v[60:61], v[2:3], v[8:9], v[0:1]
	global_load_b128 v[8:11], v[4:5], off offset:224
	ds_load_b128 v[0:3], v48 offset:44000
	s_waitcnt vmcnt(0) lgkmcnt(0)
	v_mul_f64 v[6:7], v[2:3], v[10:11]
	scratch_store_b128 off, v[8:11], off offset:1228 ; 16-byte Folded Spill
	v_fma_f64 v[64:65], v[0:1], v[8:9], -v[6:7]
	v_mul_f64 v[0:1], v[0:1], v[10:11]
	s_delay_alu instid0(VALU_DEP_2) | instskip(NEXT) | instid1(VALU_DEP_2)
	v_add_f64 v[155:156], v[66:67], -v[64:65]
	v_fma_f64 v[62:63], v[2:3], v[8:9], v[0:1]
	global_load_b128 v[6:9], v[4:5], off offset:240
	ds_load_b128 v[0:3], v48 offset:56000
	s_waitcnt vmcnt(0) lgkmcnt(0)
	v_mul_f64 v[4:5], v[2:3], v[8:9]
	scratch_store_b128 off, v[6:9], off offset:1244 ; 16-byte Folded Spill
	v_fma_f64 v[68:69], v[0:1], v[6:7], -v[4:5]
	v_mul_f64 v[0:1], v[0:1], v[8:9]
	s_delay_alu instid0(VALU_DEP_1) | instskip(SKIP_1) | instid1(VALU_DEP_1)
	v_fma_f64 v[70:71], v[2:3], v[6:7], v[0:1]
	v_mul_u32_u24_e32 v0, 0x8889, v113
	v_lshrrev_b32_e32 v113, 19, v0
	s_delay_alu instid0(VALU_DEP_1) | instskip(NEXT) | instid1(VALU_DEP_1)
	v_mul_lo_u16 v0, v113, 15
	v_sub_nc_u16 v119, v203, v0
	s_delay_alu instid0(VALU_DEP_1) | instskip(NEXT) | instid1(VALU_DEP_1)
	v_lshlrev_b16 v0, 6, v119
	v_and_b32_e32 v0, 0xffff, v0
	s_delay_alu instid0(VALU_DEP_1) | instskip(NEXT) | instid1(VALU_DEP_1)
	v_add_co_u32 v4, s22, s10, v0
	v_add_co_ci_u32_e64 v5, null, s11, 0, s22
	ds_load_b128 v[0:3], v48 offset:22000
	s_clause 0x2
	global_load_b128 v[8:11], v[4:5], off offset:192
	global_load_b128 v[250:253], v[4:5], off offset:208
	;; [unrolled: 1-line block ×3, first 2 shown]
	s_waitcnt vmcnt(2) lgkmcnt(0)
	v_mul_f64 v[6:7], v[2:3], v[10:11]
	scratch_store_b128 off, v[8:11], off offset:1328 ; 16-byte Folded Spill
	v_fma_f64 v[42:43], v[0:1], v[8:9], -v[6:7]
	v_mul_f64 v[0:1], v[0:1], v[10:11]
	s_delay_alu instid0(VALU_DEP_1) | instskip(SKIP_3) | instid1(VALU_DEP_1)
	v_fma_f64 v[40:41], v[2:3], v[8:9], v[0:1]
	ds_load_b128 v[0:3], v48 offset:34000
	s_waitcnt vmcnt(1) lgkmcnt(0)
	v_mul_f64 v[6:7], v[2:3], v[252:253]
	v_fma_f64 v[50:51], v[0:1], v[250:251], -v[6:7]
	v_mul_f64 v[0:1], v[0:1], v[252:253]
	s_delay_alu instid0(VALU_DEP_2) | instskip(NEXT) | instid1(VALU_DEP_2)
	v_add_f64 v[161:162], v[50:51], -v[42:43]
	v_fma_f64 v[44:45], v[2:3], v[250:251], v[0:1]
	ds_load_b128 v[0:3], v48 offset:46000
	s_waitcnt vmcnt(0) lgkmcnt(0)
	v_mul_f64 v[6:7], v[2:3], v[248:249]
	s_delay_alu instid0(VALU_DEP_1) | instskip(SKIP_3) | instid1(VALU_DEP_2)
	v_fma_f64 v[104:105], v[0:1], v[246:247], -v[6:7]
	global_load_b128 v[6:9], v[4:5], off offset:240
	v_mul_f64 v[0:1], v[0:1], v[248:249]
	v_add_f64 v[159:160], v[50:51], -v[104:105]
	v_fma_f64 v[46:47], v[2:3], v[246:247], v[0:1]
	ds_load_b128 v[0:3], v48 offset:58000
	s_waitcnt vmcnt(0) lgkmcnt(0)
	v_mul_f64 v[4:5], v[2:3], v[8:9]
	scratch_store_b128 off, v[6:9], off offset:1344 ; 16-byte Folded Spill
	v_fma_f64 v[52:53], v[0:1], v[6:7], -v[4:5]
	v_mul_f64 v[0:1], v[0:1], v[8:9]
	v_add_f64 v[4:5], v[26:27], -v[22:23]
	ds_load_b128 v[8:11], v48
	v_fma_f64 v[54:55], v[2:3], v[6:7], v[0:1]
	v_add_f64 v[0:1], v[12:13], -v[16:17]
	v_add_f64 v[2:3], v[24:25], -v[20:21]
	s_delay_alu instid0(VALU_DEP_1) | instskip(SKIP_1) | instid1(VALU_DEP_1)
	v_add_f64 v[0:1], v[0:1], v[2:3]
	v_add_f64 v[2:3], v[14:15], -v[18:19]
	v_add_f64 v[2:3], v[2:3], v[4:5]
	v_add_f64 v[4:5], v[16:17], v[20:21]
	s_waitcnt lgkmcnt(0)
	s_delay_alu instid0(VALU_DEP_1) | instskip(SKIP_1) | instid1(VALU_DEP_1)
	v_fma_f64 v[28:29], v[4:5], -0.5, v[8:9]
	v_add_f64 v[4:5], v[18:19], v[22:23]
	v_fma_f64 v[30:31], v[4:5], -0.5, v[10:11]
	s_delay_alu instid0(VALU_DEP_3) | instskip(SKIP_1) | instid1(VALU_DEP_3)
	v_fma_f64 v[4:5], v[130:131], s[12:13], v[28:29]
	v_fma_f64 v[28:29], v[130:131], s[14:15], v[28:29]
	;; [unrolled: 1-line block ×4, first 2 shown]
	s_delay_alu instid0(VALU_DEP_4) | instskip(NEXT) | instid1(VALU_DEP_4)
	v_fma_f64 v[4:5], v[132:133], s[2:3], v[4:5]
	v_fma_f64 v[28:29], v[132:133], s[8:9], v[28:29]
	s_delay_alu instid0(VALU_DEP_4) | instskip(NEXT) | instid1(VALU_DEP_4)
	v_fma_f64 v[6:7], v[136:137], s[8:9], v[6:7]
	v_fma_f64 v[30:31], v[136:137], s[2:3], v[30:31]
	;; [unrolled: 3-line block ×3, first 2 shown]
	v_add_f64 v[28:29], v[12:13], v[24:25]
	v_fma_f64 v[6:7], v[2:3], s[16:17], v[6:7]
	v_fma_f64 v[2:3], v[2:3], s[16:17], v[30:31]
	v_add_f64 v[30:31], v[14:15], v[26:27]
	s_delay_alu instid0(VALU_DEP_4) | instskip(SKIP_2) | instid1(VALU_DEP_4)
	v_fma_f64 v[28:29], v[28:29], -0.5, v[8:9]
	v_add_f64 v[8:9], v[8:9], v[12:13]
	v_add_f64 v[12:13], v[16:17], -v[12:13]
	v_fma_f64 v[30:31], v[30:31], -0.5, v[10:11]
	v_add_f64 v[10:11], v[10:11], v[14:15]
	v_add_f64 v[14:15], v[18:19], -v[14:15]
	v_add_f64 v[8:9], v[8:9], v[16:17]
	v_add_f64 v[16:17], v[20:21], -v[24:25]
	s_delay_alu instid0(VALU_DEP_4) | instskip(SKIP_1) | instid1(VALU_DEP_4)
	v_add_f64 v[10:11], v[10:11], v[18:19]
	v_add_f64 v[18:19], v[22:23], -v[26:27]
	v_add_f64 v[8:9], v[8:9], v[20:21]
	v_fma_f64 v[20:21], v[132:133], s[14:15], v[28:29]
	v_add_f64 v[12:13], v[12:13], v[16:17]
	v_add_f64 v[10:11], v[10:11], v[22:23]
	v_fma_f64 v[22:23], v[132:133], s[12:13], v[28:29]
	v_add_f64 v[8:9], v[8:9], v[24:25]
	v_fma_f64 v[24:25], v[136:137], s[12:13], v[30:31]
	;; [unrolled: 2-line block ×4, first 2 shown]
	v_fma_f64 v[20:21], v[130:131], s[8:9], v[22:23]
	v_fma_f64 v[18:19], v[134:135], s[8:9], v[24:25]
	v_add_f64 v[24:25], v[128:129], -v[122:123]
	v_fma_f64 v[16:17], v[12:13], s[16:17], v[16:17]
	ds_load_b128 v[28:31], v48 offset:2000
	v_add_f64 v[136:137], v[38:39], -v[122:123]
	v_fma_f64 v[22:23], v[134:135], s[2:3], v[26:27]
	v_fma_f64 v[12:13], v[12:13], s[16:17], v[20:21]
	;; [unrolled: 1-line block ×3, first 2 shown]
	v_add_f64 v[20:21], v[32:33], -v[36:37]
	v_add_f64 v[134:135], v[34:35], -v[128:129]
	v_fma_f64 v[14:15], v[14:15], s[16:17], v[22:23]
	v_add_f64 v[22:23], v[126:127], -v[120:121]
	s_delay_alu instid0(VALU_DEP_1) | instskip(SKIP_1) | instid1(VALU_DEP_1)
	v_add_f64 v[20:21], v[20:21], v[22:23]
	v_add_f64 v[22:23], v[34:35], -v[38:39]
	v_add_f64 v[22:23], v[22:23], v[24:25]
	v_add_f64 v[24:25], v[36:37], v[120:121]
	s_waitcnt lgkmcnt(0)
	s_delay_alu instid0(VALU_DEP_1) | instskip(SKIP_1) | instid1(VALU_DEP_1)
	v_fma_f64 v[130:131], v[24:25], -0.5, v[28:29]
	v_add_f64 v[24:25], v[38:39], v[122:123]
	v_fma_f64 v[132:133], v[24:25], -0.5, v[30:31]
	s_delay_alu instid0(VALU_DEP_3) | instskip(SKIP_1) | instid1(VALU_DEP_3)
	v_fma_f64 v[24:25], v[134:135], s[12:13], v[130:131]
	v_fma_f64 v[130:131], v[134:135], s[14:15], v[130:131]
	;; [unrolled: 1-line block ×4, first 2 shown]
	s_delay_alu instid0(VALU_DEP_4) | instskip(NEXT) | instid1(VALU_DEP_4)
	v_fma_f64 v[24:25], v[136:137], s[2:3], v[24:25]
	v_fma_f64 v[130:131], v[136:137], s[8:9], v[130:131]
	s_delay_alu instid0(VALU_DEP_4) | instskip(NEXT) | instid1(VALU_DEP_4)
	v_fma_f64 v[26:27], v[140:141], s[8:9], v[26:27]
	v_fma_f64 v[132:133], v[140:141], s[2:3], v[132:133]
	;; [unrolled: 3-line block ×3, first 2 shown]
	v_add_f64 v[130:131], v[32:33], v[126:127]
	v_fma_f64 v[26:27], v[22:23], s[16:17], v[26:27]
	v_fma_f64 v[22:23], v[22:23], s[16:17], v[132:133]
	v_add_f64 v[132:133], v[34:35], v[128:129]
	s_delay_alu instid0(VALU_DEP_4) | instskip(SKIP_2) | instid1(VALU_DEP_4)
	v_fma_f64 v[130:131], v[130:131], -0.5, v[28:29]
	v_add_f64 v[28:29], v[28:29], v[32:33]
	v_add_f64 v[32:33], v[36:37], -v[32:33]
	v_fma_f64 v[132:133], v[132:133], -0.5, v[30:31]
	v_add_f64 v[30:31], v[30:31], v[34:35]
	v_add_f64 v[34:35], v[38:39], -v[34:35]
	v_add_f64 v[28:29], v[28:29], v[36:37]
	v_add_f64 v[36:37], v[120:121], -v[126:127]
	s_delay_alu instid0(VALU_DEP_4) | instskip(SKIP_1) | instid1(VALU_DEP_4)
	v_add_f64 v[30:31], v[30:31], v[38:39]
	v_add_f64 v[38:39], v[122:123], -v[128:129]
	v_add_f64 v[28:29], v[28:29], v[120:121]
	v_fma_f64 v[120:121], v[136:137], s[14:15], v[130:131]
	v_add_f64 v[32:33], v[32:33], v[36:37]
	v_add_f64 v[30:31], v[30:31], v[122:123]
	v_fma_f64 v[122:123], v[136:137], s[12:13], v[130:131]
	v_add_f64 v[28:29], v[28:29], v[126:127]
	v_fma_f64 v[126:127], v[140:141], s[12:13], v[132:133]
	;; [unrolled: 2-line block ×4, first 2 shown]
	v_fma_f64 v[120:121], v[134:135], s[8:9], v[122:123]
	v_fma_f64 v[38:39], v[138:139], s[8:9], v[126:127]
	v_add_f64 v[126:127], v[98:99], v[96:97]
	v_fma_f64 v[36:37], v[32:33], s[16:17], v[36:37]
	v_add_f64 v[140:141], v[92:93], -v[94:95]
	v_fma_f64 v[122:123], v[138:139], s[2:3], v[128:129]
	v_fma_f64 v[32:33], v[32:33], s[16:17], v[120:121]
	;; [unrolled: 1-line block ×3, first 2 shown]
	v_add_f64 v[120:121], v[90:91], -v[98:99]
	v_add_f64 v[138:139], v[88:89], -v[102:103]
	v_fma_f64 v[34:35], v[34:35], s[16:17], v[122:123]
	v_add_f64 v[122:123], v[100:101], -v[96:97]
	s_delay_alu instid0(VALU_DEP_1) | instskip(SKIP_2) | instid1(VALU_DEP_1)
	v_add_f64 v[130:131], v[120:121], v[122:123]
	v_add_f64 v[120:121], v[88:89], -v[92:93]
	v_add_f64 v[122:123], v[102:103], -v[94:95]
	v_add_f64 v[132:133], v[120:121], v[122:123]
	ds_load_b128 v[120:123], v48 offset:4000
	s_waitcnt lgkmcnt(0)
	v_fma_f64 v[134:135], v[126:127], -0.5, v[120:121]
	v_add_f64 v[126:127], v[92:93], v[94:95]
	s_delay_alu instid0(VALU_DEP_1) | instskip(NEXT) | instid1(VALU_DEP_3)
	v_fma_f64 v[136:137], v[126:127], -0.5, v[122:123]
	v_fma_f64 v[126:127], v[138:139], s[12:13], v[134:135]
	v_fma_f64 v[134:135], v[138:139], s[14:15], v[134:135]
	s_delay_alu instid0(VALU_DEP_3) | instskip(NEXT) | instid1(VALU_DEP_3)
	v_fma_f64 v[128:129], v[142:143], s[14:15], v[136:137]
	v_fma_f64 v[126:127], v[140:141], s[2:3], v[126:127]
	;; [unrolled: 1-line block ×3, first 2 shown]
	s_delay_alu instid0(VALU_DEP_4) | instskip(NEXT) | instid1(VALU_DEP_4)
	v_fma_f64 v[134:135], v[140:141], s[8:9], v[134:135]
	v_fma_f64 v[128:129], v[144:145], s[8:9], v[128:129]
	s_delay_alu instid0(VALU_DEP_4) | instskip(NEXT) | instid1(VALU_DEP_4)
	v_fma_f64 v[126:127], v[130:131], s[16:17], v[126:127]
	v_fma_f64 v[136:137], v[144:145], s[2:3], v[136:137]
	s_delay_alu instid0(VALU_DEP_4) | instskip(SKIP_2) | instid1(VALU_DEP_4)
	v_fma_f64 v[130:131], v[130:131], s[16:17], v[134:135]
	v_add_f64 v[134:135], v[90:91], v[100:101]
	v_fma_f64 v[128:129], v[132:133], s[16:17], v[128:129]
	v_fma_f64 v[132:133], v[132:133], s[16:17], v[136:137]
	v_add_f64 v[136:137], v[88:89], v[102:103]
	s_delay_alu instid0(VALU_DEP_4) | instskip(SKIP_1) | instid1(VALU_DEP_3)
	v_fma_f64 v[134:135], v[134:135], -0.5, v[120:121]
	v_add_f64 v[120:121], v[120:121], v[90:91]
	v_fma_f64 v[136:137], v[136:137], -0.5, v[122:123]
	v_add_f64 v[122:123], v[122:123], v[88:89]
	s_delay_alu instid0(VALU_DEP_3) | instskip(NEXT) | instid1(VALU_DEP_3)
	v_add_f64 v[90:91], v[120:121], v[98:99]
	v_fma_f64 v[120:121], v[144:145], s[14:15], v[136:137]
	s_delay_alu instid0(VALU_DEP_3) | instskip(SKIP_1) | instid1(VALU_DEP_4)
	v_add_f64 v[98:99], v[122:123], v[92:93]
	v_add_f64 v[92:93], v[92:93], -v[88:89]
	v_add_f64 v[88:89], v[90:91], v[96:97]
	v_add_f64 v[96:97], v[96:97], -v[100:101]
	s_delay_alu instid0(VALU_DEP_4) | instskip(SKIP_1) | instid1(VALU_DEP_4)
	v_add_f64 v[90:91], v[98:99], v[94:95]
	v_add_f64 v[94:95], v[94:95], -v[102:103]
	v_add_f64 v[88:89], v[88:89], v[100:101]
	v_fma_f64 v[98:99], v[140:141], s[14:15], v[134:135]
	v_fma_f64 v[100:101], v[140:141], s[12:13], v[134:135]
	v_add_f64 v[96:97], v[146:147], v[96:97]
	v_add_f64 v[146:147], v[74:75], -v[84:85]
	v_add_f64 v[90:91], v[90:91], v[102:103]
	v_fma_f64 v[102:103], v[144:145], s[12:13], v[136:137]
	v_add_f64 v[122:123], v[92:93], v[94:95]
	v_fma_f64 v[92:93], v[138:139], s[2:3], v[98:99]
	v_fma_f64 v[98:99], v[138:139], s[8:9], v[100:101]
	;; [unrolled: 1-line block ×3, first 2 shown]
	v_add_f64 v[120:121], v[80:81], v[82:83]
	v_add_f64 v[144:145], v[76:77], -v[78:79]
	v_fma_f64 v[94:95], v[142:143], s[8:9], v[102:103]
	v_add_f64 v[102:103], v[84:85], -v[82:83]
	v_fma_f64 v[92:93], v[96:97], s[16:17], v[92:93]
	v_fma_f64 v[96:97], v[96:97], s[16:17], v[98:99]
	;; [unrolled: 1-line block ×3, first 2 shown]
	v_add_f64 v[100:101], v[74:75], -v[80:81]
	v_add_f64 v[142:143], v[72:73], -v[86:87]
	v_fma_f64 v[94:95], v[122:123], s[16:17], v[94:95]
	s_delay_alu instid0(VALU_DEP_3) | instskip(SKIP_2) | instid1(VALU_DEP_1)
	v_add_f64 v[134:135], v[100:101], v[102:103]
	v_add_f64 v[100:101], v[72:73], -v[76:77]
	v_add_f64 v[102:103], v[86:87], -v[78:79]
	v_add_f64 v[136:137], v[100:101], v[102:103]
	ds_load_b128 v[100:103], v48 offset:6000
	s_waitcnt lgkmcnt(0)
	v_fma_f64 v[138:139], v[120:121], -0.5, v[100:101]
	v_add_f64 v[120:121], v[76:77], v[78:79]
	s_delay_alu instid0(VALU_DEP_1) | instskip(NEXT) | instid1(VALU_DEP_3)
	v_fma_f64 v[140:141], v[120:121], -0.5, v[102:103]
	v_fma_f64 v[120:121], v[142:143], s[12:13], v[138:139]
	v_fma_f64 v[138:139], v[142:143], s[14:15], v[138:139]
	s_delay_alu instid0(VALU_DEP_3) | instskip(NEXT) | instid1(VALU_DEP_3)
	v_fma_f64 v[122:123], v[146:147], s[14:15], v[140:141]
	v_fma_f64 v[120:121], v[144:145], s[2:3], v[120:121]
	;; [unrolled: 1-line block ×3, first 2 shown]
	s_delay_alu instid0(VALU_DEP_4) | instskip(NEXT) | instid1(VALU_DEP_4)
	v_fma_f64 v[138:139], v[144:145], s[8:9], v[138:139]
	v_fma_f64 v[122:123], v[148:149], s[8:9], v[122:123]
	s_delay_alu instid0(VALU_DEP_4) | instskip(NEXT) | instid1(VALU_DEP_4)
	v_fma_f64 v[120:121], v[134:135], s[16:17], v[120:121]
	v_fma_f64 v[140:141], v[148:149], s[2:3], v[140:141]
	s_delay_alu instid0(VALU_DEP_4) | instskip(SKIP_2) | instid1(VALU_DEP_4)
	v_fma_f64 v[134:135], v[134:135], s[16:17], v[138:139]
	v_add_f64 v[138:139], v[74:75], v[84:85]
	v_fma_f64 v[122:123], v[136:137], s[16:17], v[122:123]
	v_fma_f64 v[136:137], v[136:137], s[16:17], v[140:141]
	v_add_f64 v[140:141], v[72:73], v[86:87]
	s_delay_alu instid0(VALU_DEP_4) | instskip(SKIP_1) | instid1(VALU_DEP_3)
	v_fma_f64 v[138:139], v[138:139], -0.5, v[100:101]
	v_add_f64 v[100:101], v[100:101], v[74:75]
	v_fma_f64 v[140:141], v[140:141], -0.5, v[102:103]
	v_add_f64 v[102:103], v[102:103], v[72:73]
	s_delay_alu instid0(VALU_DEP_3) | instskip(NEXT) | instid1(VALU_DEP_3)
	v_add_f64 v[74:75], v[100:101], v[80:81]
	v_fma_f64 v[100:101], v[148:149], s[14:15], v[140:141]
	s_delay_alu instid0(VALU_DEP_3) | instskip(SKIP_1) | instid1(VALU_DEP_4)
	v_add_f64 v[80:81], v[102:103], v[76:77]
	v_add_f64 v[76:77], v[76:77], -v[72:73]
	v_add_f64 v[72:73], v[74:75], v[82:83]
	s_delay_alu instid0(VALU_DEP_3) | instskip(SKIP_1) | instid1(VALU_DEP_3)
	v_add_f64 v[74:75], v[80:81], v[78:79]
	v_add_f64 v[80:81], v[82:83], -v[84:85]
	v_add_f64 v[72:73], v[72:73], v[84:85]
	v_add_f64 v[78:79], v[78:79], -v[86:87]
	v_fma_f64 v[82:83], v[144:145], s[14:15], v[138:139]
	v_fma_f64 v[84:85], v[144:145], s[12:13], v[138:139]
	v_add_f64 v[74:75], v[74:75], v[86:87]
	v_fma_f64 v[86:87], v[148:149], s[12:13], v[140:141]
	v_add_f64 v[80:81], v[150:151], v[80:81]
	v_add_f64 v[102:103], v[76:77], v[78:79]
	v_fma_f64 v[76:77], v[142:143], s[2:3], v[82:83]
	v_fma_f64 v[82:83], v[142:143], s[8:9], v[84:85]
	;; [unrolled: 1-line block ×3, first 2 shown]
	v_add_f64 v[100:101], v[66:67], v[64:65]
	v_add_f64 v[148:149], v[60:61], -v[62:63]
	v_add_f64 v[150:151], v[58:59], -v[68:69]
	v_fma_f64 v[78:79], v[146:147], s[8:9], v[86:87]
	v_add_f64 v[86:87], v[68:69], -v[64:65]
	v_add_f64 v[146:147], v[56:57], -v[70:71]
	v_fma_f64 v[76:77], v[80:81], s[16:17], v[76:77]
	v_fma_f64 v[80:81], v[80:81], s[16:17], v[82:83]
	;; [unrolled: 1-line block ×3, first 2 shown]
	v_add_f64 v[84:85], v[58:59], -v[66:67]
	v_fma_f64 v[78:79], v[102:103], s[16:17], v[78:79]
	s_delay_alu instid0(VALU_DEP_2) | instskip(SKIP_2) | instid1(VALU_DEP_1)
	v_add_f64 v[138:139], v[84:85], v[86:87]
	v_add_f64 v[84:85], v[56:57], -v[60:61]
	v_add_f64 v[86:87], v[70:71], -v[62:63]
	v_add_f64 v[140:141], v[84:85], v[86:87]
	ds_load_b128 v[84:87], v48 offset:8000
	s_waitcnt lgkmcnt(0)
	v_fma_f64 v[142:143], v[100:101], -0.5, v[84:85]
	v_add_f64 v[100:101], v[60:61], v[62:63]
	s_delay_alu instid0(VALU_DEP_1) | instskip(NEXT) | instid1(VALU_DEP_3)
	v_fma_f64 v[144:145], v[100:101], -0.5, v[86:87]
	v_fma_f64 v[100:101], v[146:147], s[12:13], v[142:143]
	v_fma_f64 v[142:143], v[146:147], s[14:15], v[142:143]
	s_delay_alu instid0(VALU_DEP_3) | instskip(NEXT) | instid1(VALU_DEP_3)
	v_fma_f64 v[102:103], v[150:151], s[14:15], v[144:145]
	v_fma_f64 v[100:101], v[148:149], s[2:3], v[100:101]
	;; [unrolled: 1-line block ×3, first 2 shown]
	s_delay_alu instid0(VALU_DEP_4) | instskip(NEXT) | instid1(VALU_DEP_4)
	v_fma_f64 v[142:143], v[148:149], s[8:9], v[142:143]
	v_fma_f64 v[102:103], v[155:156], s[8:9], v[102:103]
	s_delay_alu instid0(VALU_DEP_4) | instskip(NEXT) | instid1(VALU_DEP_4)
	v_fma_f64 v[100:101], v[138:139], s[16:17], v[100:101]
	v_fma_f64 v[144:145], v[155:156], s[2:3], v[144:145]
	s_delay_alu instid0(VALU_DEP_4) | instskip(SKIP_2) | instid1(VALU_DEP_4)
	v_fma_f64 v[138:139], v[138:139], s[16:17], v[142:143]
	v_add_f64 v[142:143], v[58:59], v[68:69]
	v_fma_f64 v[102:103], v[140:141], s[16:17], v[102:103]
	v_fma_f64 v[140:141], v[140:141], s[16:17], v[144:145]
	v_add_f64 v[144:145], v[56:57], v[70:71]
	s_delay_alu instid0(VALU_DEP_4) | instskip(SKIP_1) | instid1(VALU_DEP_3)
	v_fma_f64 v[142:143], v[142:143], -0.5, v[84:85]
	v_add_f64 v[84:85], v[84:85], v[58:59]
	v_fma_f64 v[144:145], v[144:145], -0.5, v[86:87]
	v_add_f64 v[86:87], v[86:87], v[56:57]
	s_delay_alu instid0(VALU_DEP_3) | instskip(NEXT) | instid1(VALU_DEP_3)
	v_add_f64 v[58:59], v[84:85], v[66:67]
	v_fma_f64 v[84:85], v[155:156], s[14:15], v[144:145]
	s_delay_alu instid0(VALU_DEP_3) | instskip(SKIP_1) | instid1(VALU_DEP_4)
	v_add_f64 v[66:67], v[86:87], v[60:61]
	v_add_f64 v[60:61], v[60:61], -v[56:57]
	v_add_f64 v[56:57], v[58:59], v[64:65]
	v_add_f64 v[64:65], v[64:65], -v[68:69]
	s_delay_alu instid0(VALU_DEP_4) | instskip(SKIP_1) | instid1(VALU_DEP_4)
	v_add_f64 v[58:59], v[66:67], v[62:63]
	v_add_f64 v[62:63], v[62:63], -v[70:71]
	v_add_f64 v[56:57], v[56:57], v[68:69]
	v_fma_f64 v[66:67], v[148:149], s[14:15], v[142:143]
	v_fma_f64 v[68:69], v[148:149], s[12:13], v[142:143]
	v_add_f64 v[64:65], v[157:158], v[64:65]
	v_add_f64 v[157:158], v[42:43], -v[52:53]
	v_add_f64 v[58:59], v[58:59], v[70:71]
	v_fma_f64 v[70:71], v[155:156], s[12:13], v[144:145]
	v_add_f64 v[86:87], v[60:61], v[62:63]
	v_fma_f64 v[60:61], v[146:147], s[2:3], v[66:67]
	v_fma_f64 v[66:67], v[146:147], s[8:9], v[68:69]
	;; [unrolled: 1-line block ×3, first 2 shown]
	v_add_f64 v[84:85], v[50:51], v[104:105]
	v_add_f64 v[155:156], v[44:45], -v[46:47]
	v_fma_f64 v[62:63], v[150:151], s[8:9], v[70:71]
	v_add_f64 v[70:71], v[52:53], -v[104:105]
	v_fma_f64 v[60:61], v[64:65], s[16:17], v[60:61]
	v_fma_f64 v[64:65], v[64:65], s[16:17], v[66:67]
	;; [unrolled: 1-line block ×3, first 2 shown]
	v_add_f64 v[68:69], v[42:43], -v[50:51]
	v_add_f64 v[150:151], v[40:41], -v[54:55]
	v_fma_f64 v[62:63], v[86:87], s[16:17], v[62:63]
	s_delay_alu instid0(VALU_DEP_3) | instskip(SKIP_2) | instid1(VALU_DEP_1)
	v_add_f64 v[142:143], v[68:69], v[70:71]
	v_add_f64 v[68:69], v[40:41], -v[44:45]
	v_add_f64 v[70:71], v[54:55], -v[46:47]
	v_add_f64 v[144:145], v[68:69], v[70:71]
	ds_load_b128 v[68:71], v48 offset:10000
	s_waitcnt lgkmcnt(0)
	v_fma_f64 v[146:147], v[84:85], -0.5, v[68:69]
	v_add_f64 v[84:85], v[44:45], v[46:47]
	s_delay_alu instid0(VALU_DEP_1) | instskip(NEXT) | instid1(VALU_DEP_3)
	v_fma_f64 v[148:149], v[84:85], -0.5, v[70:71]
	v_fma_f64 v[84:85], v[150:151], s[12:13], v[146:147]
	v_fma_f64 v[146:147], v[150:151], s[14:15], v[146:147]
	s_delay_alu instid0(VALU_DEP_3) | instskip(SKIP_1) | instid1(VALU_DEP_4)
	v_fma_f64 v[86:87], v[157:158], s[14:15], v[148:149]
	v_fma_f64 v[148:149], v[157:158], s[12:13], v[148:149]
	;; [unrolled: 1-line block ×3, first 2 shown]
	s_delay_alu instid0(VALU_DEP_4) | instskip(NEXT) | instid1(VALU_DEP_4)
	v_fma_f64 v[146:147], v[155:156], s[8:9], v[146:147]
	v_fma_f64 v[86:87], v[159:160], s[8:9], v[86:87]
	s_delay_alu instid0(VALU_DEP_4) | instskip(NEXT) | instid1(VALU_DEP_4)
	v_fma_f64 v[148:149], v[159:160], s[2:3], v[148:149]
	v_fma_f64 v[84:85], v[142:143], s[16:17], v[84:85]
	s_delay_alu instid0(VALU_DEP_4) | instskip(SKIP_4) | instid1(VALU_DEP_4)
	v_fma_f64 v[142:143], v[142:143], s[16:17], v[146:147]
	v_add_f64 v[146:147], v[42:43], v[52:53]
	v_fma_f64 v[86:87], v[144:145], s[16:17], v[86:87]
	v_fma_f64 v[144:145], v[144:145], s[16:17], v[148:149]
	v_add_f64 v[148:149], v[40:41], v[54:55]
	v_fma_f64 v[146:147], v[146:147], -0.5, v[68:69]
	v_add_f64 v[68:69], v[68:69], v[42:43]
	s_delay_alu instid0(VALU_DEP_3) | instskip(SKIP_1) | instid1(VALU_DEP_3)
	v_fma_f64 v[148:149], v[148:149], -0.5, v[70:71]
	v_add_f64 v[70:71], v[70:71], v[40:41]
	v_add_f64 v[42:43], v[68:69], v[50:51]
	s_delay_alu instid0(VALU_DEP_3) | instskip(NEXT) | instid1(VALU_DEP_3)
	v_fma_f64 v[68:69], v[159:160], s[12:13], v[148:149]
	v_add_f64 v[50:51], v[70:71], v[44:45]
	v_add_f64 v[44:45], v[44:45], -v[40:41]
	s_delay_alu instid0(VALU_DEP_4) | instskip(SKIP_1) | instid1(VALU_DEP_4)
	v_add_f64 v[40:41], v[42:43], v[104:105]
	v_fma_f64 v[70:71], v[159:160], s[14:15], v[148:149]
	v_add_f64 v[42:43], v[50:51], v[46:47]
	v_add_f64 v[50:51], v[104:105], -v[52:53]
	s_delay_alu instid0(VALU_DEP_4)
	v_add_f64 v[40:41], v[40:41], v[52:53]
	v_add_f64 v[46:47], v[46:47], -v[54:55]
	v_fma_f64 v[52:53], v[155:156], s[14:15], v[146:147]
	v_add_f64 v[42:43], v[42:43], v[54:55]
	v_fma_f64 v[54:55], v[155:156], s[12:13], v[146:147]
	v_add_f64 v[50:51], v[161:162], v[50:51]
	v_add_f64 v[104:105], v[44:45], v[46:47]
	v_fma_f64 v[44:45], v[150:151], s[2:3], v[52:53]
	v_fma_f64 v[46:47], v[157:158], s[8:9], v[68:69]
	;; [unrolled: 1-line block ×4, first 2 shown]
	s_delay_alu instid0(VALU_DEP_4) | instskip(NEXT) | instid1(VALU_DEP_4)
	v_fma_f64 v[44:45], v[50:51], s[16:17], v[44:45]
	v_fma_f64 v[46:47], v[104:105], s[16:17], v[46:47]
	s_delay_alu instid0(VALU_DEP_4) | instskip(NEXT) | instid1(VALU_DEP_4)
	v_fma_f64 v[50:51], v[50:51], s[16:17], v[52:53]
	v_fma_f64 v[52:53], v[104:105], s[16:17], v[54:55]
	v_and_b32_e32 v54, 0xffff, v106
	s_delay_alu instid0(VALU_DEP_1) | instskip(NEXT) | instid1(VALU_DEP_1)
	v_mul_u32_u24_e32 v54, 0x4b, v54
	v_add_lshl_u32 v54, v54, v107, 4
	scratch_store_b32 off, v54, off offset:1536 ; 4-byte Folded Spill
	s_waitcnt_vscnt null, 0x0
	s_barrier
	buffer_gl0_inv
	ds_store_b128 v54, v[8:11]
	ds_store_b128 v54, v[4:7] offset:240
	ds_store_b128 v54, v[16:19] offset:480
	;; [unrolled: 1-line block ×4, first 2 shown]
	v_and_b32_e32 v0, 0xffff, v108
	s_delay_alu instid0(VALU_DEP_1) | instskip(NEXT) | instid1(VALU_DEP_1)
	v_mul_u32_u24_e32 v0, 0x4b, v0
	v_add_lshl_u32 v0, v0, v109, 4
	scratch_store_b32 off, v0, off offset:1468 ; 4-byte Folded Spill
	ds_store_b128 v0, v[28:31]
	ds_store_b128 v0, v[24:27] offset:240
	ds_store_b128 v0, v[36:39] offset:480
	ds_store_b128 v0, v[32:35] offset:720
	ds_store_b128 v0, v[20:23] offset:960
	v_mad_u16 v0, 0x4b, v112, v116
	s_delay_alu instid0(VALU_DEP_1) | instskip(NEXT) | instid1(VALU_DEP_1)
	v_and_b32_e32 v0, 0xffff, v0
	v_lshlrev_b32_e32 v0, 4, v0
	scratch_store_b32 off, v0, off offset:1448 ; 4-byte Folded Spill
	ds_store_b128 v0, v[88:91]
	ds_store_b128 v0, v[126:129] offset:240
	ds_store_b128 v0, v[92:95] offset:480
	ds_store_b128 v0, v[96:99] offset:720
	ds_store_b128 v0, v[130:133] offset:960
	v_mad_u16 v0, 0x4b, v115, v117
	s_delay_alu instid0(VALU_DEP_1) | instskip(NEXT) | instid1(VALU_DEP_1)
	v_and_b32_e32 v0, 0xffff, v0
	v_lshlrev_b32_e32 v0, 4, v0
	;; [unrolled: 10-line block ×4, first 2 shown]
	scratch_store_b32 off, v0, off offset:1192 ; 4-byte Folded Spill
	ds_store_b128 v0, v[40:43]
	ds_store_b128 v0, v[84:87] offset:240
	ds_store_b128 v0, v[44:47] offset:480
	;; [unrolled: 1-line block ×4, first 2 shown]
	v_add_nc_u32_e32 v0, 0xffffffb5, v172
	scratch_store_b32 off, v152, off offset:488 ; 4-byte Folded Spill
	s_waitcnt lgkmcnt(0)
	s_waitcnt_vscnt null, 0x0
	s_barrier
	buffer_gl0_inv
	v_cndmask_b32_e32 v159, v0, v172, vcc_lo
	s_delay_alu instid0(VALU_DEP_1) | instskip(SKIP_1) | instid1(VALU_DEP_2)
	v_mul_i32_i24_e32 v0, 0x90, v159
	v_mul_hi_i32_i24_e32 v1, 0x90, v159
	v_add_co_u32 v4, vcc_lo, s10, v0
	s_delay_alu instid0(VALU_DEP_2) | instskip(SKIP_4) | instid1(VALU_DEP_1)
	v_add_co_ci_u32_e32 v5, vcc_lo, s11, v1, vcc_lo
	ds_load_b128 v[0:3], v48 offset:6000
	v_cmp_lt_u16_e32 vcc_lo, 0x4a, v125
	global_load_b128 v[8:11], v[4:5], off offset:1152
	v_cndmask_b32_e64 v125, 0, 0x2ee, vcc_lo
	v_add_lshl_u32 v177, v159, v125, 4
	s_waitcnt vmcnt(0) lgkmcnt(0)
	v_mul_f64 v[6:7], v[2:3], v[10:11]
	scratch_store_b128 off, v[8:11], off offset:1260 ; 16-byte Folded Spill
	v_fma_f64 v[16:17], v[0:1], v[8:9], -v[6:7]
	v_mul_f64 v[0:1], v[0:1], v[10:11]
	s_delay_alu instid0(VALU_DEP_1)
	v_fma_f64 v[18:19], v[2:3], v[8:9], v[0:1]
	global_load_b128 v[8:11], v[4:5], off offset:1168
	ds_load_b128 v[0:3], v48 offset:12000
	s_waitcnt vmcnt(0) lgkmcnt(0)
	v_mul_f64 v[6:7], v[2:3], v[10:11]
	scratch_store_b128 off, v[8:11], off offset:1276 ; 16-byte Folded Spill
	v_fma_f64 v[20:21], v[0:1], v[8:9], -v[6:7]
	v_mul_f64 v[0:1], v[0:1], v[10:11]
	s_delay_alu instid0(VALU_DEP_1)
	v_fma_f64 v[22:23], v[2:3], v[8:9], v[0:1]
	global_load_b128 v[8:11], v[4:5], off offset:1184
	ds_load_b128 v[0:3], v48 offset:18000
	;; [unrolled: 9-line block ×5, first 2 shown]
	s_waitcnt vmcnt(0) lgkmcnt(0)
	v_mul_f64 v[6:7], v[2:3], v[10:11]
	scratch_store_b128 off, v[8:11], off offset:1380 ; 16-byte Folded Spill
	v_fma_f64 v[52:53], v[0:1], v[8:9], -v[6:7]
	v_mul_f64 v[0:1], v[0:1], v[10:11]
	s_delay_alu instid0(VALU_DEP_2) | instskip(NEXT) | instid1(VALU_DEP_2)
	v_add_f64 v[230:231], v[28:29], -v[52:53]
	v_fma_f64 v[54:55], v[2:3], v[8:9], v[0:1]
	global_load_b128 v[8:11], v[4:5], off offset:1248
	ds_load_b128 v[0:3], v48 offset:42000
	v_add_f64 v[226:227], v[30:31], -v[54:55]
	s_waitcnt vmcnt(0) lgkmcnt(0)
	v_mul_f64 v[6:7], v[2:3], v[10:11]
	scratch_store_b128 off, v[8:11], off offset:1396 ; 16-byte Folded Spill
	v_fma_f64 v[58:59], v[0:1], v[8:9], -v[6:7]
	v_mul_f64 v[0:1], v[0:1], v[10:11]
	s_delay_alu instid0(VALU_DEP_2) | instskip(NEXT) | instid1(VALU_DEP_2)
	v_add_f64 v[218:219], v[46:47], -v[58:59]
	v_fma_f64 v[56:57], v[2:3], v[8:9], v[0:1]
	global_load_b128 v[8:11], v[4:5], off offset:1264
	ds_load_b128 v[0:3], v48 offset:48000
	v_add_f64 v[222:223], v[44:45], -v[56:57]
	;; [unrolled: 11-line block ×3, first 2 shown]
	s_waitcnt vmcnt(0) lgkmcnt(0)
	v_mul_f64 v[4:5], v[2:3], v[8:9]
	scratch_store_b128 off, v[6:9], off offset:1432 ; 16-byte Folded Spill
	v_fma_f64 v[94:95], v[0:1], v[6:7], -v[4:5]
	v_mul_f64 v[0:1], v[0:1], v[8:9]
	s_delay_alu instid0(VALU_DEP_2) | instskip(NEXT) | instid1(VALU_DEP_2)
	v_add_f64 v[216:217], v[26:27], -v[94:95]
	v_fma_f64 v[92:93], v[2:3], v[6:7], v[0:1]
	v_mul_lo_u16 v0, 0xdb, v111
	s_delay_alu instid0(VALU_DEP_1) | instskip(NEXT) | instid1(VALU_DEP_1)
	v_lshrrev_b16 v155, 14, v0
	v_mul_lo_u16 v0, 0x4b, v155
	s_delay_alu instid0(VALU_DEP_1) | instskip(NEXT) | instid1(VALU_DEP_1)
	v_sub_nc_u16 v0, v153, v0
	v_and_b32_e32 v156, 0xff, v0
	ds_load_b128 v[0:3], v48 offset:8000
	v_mad_u64_u32 v[4:5], null, 0x90, v156, s[10:11]
	s_clause 0x8
	global_load_b128 v[212:215], v[4:5], off offset:1152
	global_load_b128 v[208:211], v[4:5], off offset:1168
	global_load_b128 v[204:207], v[4:5], off offset:1184
	global_load_b128 v[8:11], v[4:5], off offset:1200
	global_load_b128 v[196:199], v[4:5], off offset:1216
	global_load_b128 v[192:195], v[4:5], off offset:1232
	global_load_b128 v[188:191], v[4:5], off offset:1248
	global_load_b128 v[184:187], v[4:5], off offset:1264
	global_load_b128 v[180:183], v[4:5], off offset:1280
	v_add_f64 v[220:221], v[24:25], -v[92:93]
	s_waitcnt vmcnt(8) lgkmcnt(0)
	v_mul_f64 v[6:7], v[2:3], v[214:215]
	s_waitcnt vmcnt(5)
	scratch_store_b128 off, v[8:11], off offset:1452 ; 16-byte Folded Spill
	v_fma_f64 v[32:33], v[0:1], v[212:213], -v[6:7]
	v_mul_f64 v[0:1], v[0:1], v[214:215]
	s_delay_alu instid0(VALU_DEP_1) | instskip(SKIP_3) | instid1(VALU_DEP_1)
	v_fma_f64 v[34:35], v[2:3], v[212:213], v[0:1]
	ds_load_b128 v[0:3], v48 offset:14000
	s_waitcnt lgkmcnt(0)
	v_mul_f64 v[6:7], v[2:3], v[210:211]
	v_fma_f64 v[36:37], v[0:1], v[208:209], -v[6:7]
	v_mul_f64 v[0:1], v[0:1], v[210:211]
	s_delay_alu instid0(VALU_DEP_1) | instskip(SKIP_3) | instid1(VALU_DEP_1)
	v_fma_f64 v[38:39], v[2:3], v[208:209], v[0:1]
	ds_load_b128 v[0:3], v48 offset:20000
	s_waitcnt lgkmcnt(0)
	v_mul_f64 v[6:7], v[2:3], v[206:207]
	;; [unrolled: 7-line block ×3, first 2 shown]
	v_fma_f64 v[60:61], v[0:1], v[8:9], -v[6:7]
	v_mul_f64 v[0:1], v[0:1], v[10:11]
	s_delay_alu instid0(VALU_DEP_1) | instskip(SKIP_3) | instid1(VALU_DEP_1)
	v_fma_f64 v[62:63], v[2:3], v[8:9], v[0:1]
	ds_load_b128 v[0:3], v48 offset:32000
	s_waitcnt vmcnt(4) lgkmcnt(0)
	v_mul_f64 v[6:7], v[2:3], v[198:199]
	v_fma_f64 v[82:83], v[0:1], v[196:197], -v[6:7]
	v_mul_f64 v[0:1], v[0:1], v[198:199]
	s_delay_alu instid0(VALU_DEP_1) | instskip(SKIP_3) | instid1(VALU_DEP_1)
	v_fma_f64 v[80:81], v[2:3], v[196:197], v[0:1]
	ds_load_b128 v[0:3], v48 offset:38000
	s_waitcnt vmcnt(3) lgkmcnt(0)
	v_mul_f64 v[6:7], v[2:3], v[194:195]
	;; [unrolled: 7-line block ×5, first 2 shown]
	v_fma_f64 v[106:107], v[0:1], v[180:181], -v[4:5]
	v_mul_f64 v[0:1], v[0:1], v[182:183]
	s_delay_alu instid0(VALU_DEP_1) | instskip(SKIP_1) | instid1(VALU_DEP_1)
	v_fma_f64 v[104:105], v[2:3], v[180:181], v[0:1]
	v_mul_u32_u24_e32 v0, 0xb4e9, v110
	v_lshrrev_b32_e32 v0, 16, v0
	s_delay_alu instid0(VALU_DEP_1) | instskip(NEXT) | instid1(VALU_DEP_1)
	v_sub_nc_u16 v1, v154, v0
	v_lshrrev_b16 v1, 1, v1
	s_delay_alu instid0(VALU_DEP_1) | instskip(NEXT) | instid1(VALU_DEP_1)
	v_add_nc_u16 v0, v1, v0
	v_lshrrev_b16 v157, 6, v0
	s_delay_alu instid0(VALU_DEP_1) | instskip(NEXT) | instid1(VALU_DEP_1)
	v_mul_lo_u16 v0, 0x4b, v157
	v_sub_nc_u16 v158, v154, v0
	s_delay_alu instid0(VALU_DEP_1) | instskip(NEXT) | instid1(VALU_DEP_1)
	v_mul_lo_u16 v0, 0x90, v158
	v_and_b32_e32 v0, 0xffff, v0
	s_delay_alu instid0(VALU_DEP_1) | instskip(NEXT) | instid1(VALU_DEP_1)
	v_add_co_u32 v4, s22, s10, v0
	v_add_co_ci_u32_e64 v5, null, s11, 0, s22
	ds_load_b128 v[0:3], v48 offset:10000
	s_mov_b32 s22, 0x9b97f4a8
	s_mov_b32 s23, 0x3fe9e377
	global_load_b128 v[8:11], v[4:5], off offset:1152
	s_mov_b32 s26, s22
	s_waitcnt vmcnt(0) lgkmcnt(0)
	v_mul_f64 v[6:7], v[2:3], v[10:11]
	scratch_store_b128 off, v[8:11], off offset:1472 ; 16-byte Folded Spill
	v_fma_f64 v[148:149], v[0:1], v[8:9], -v[6:7]
	v_mul_f64 v[0:1], v[0:1], v[10:11]
	s_delay_alu instid0(VALU_DEP_1)
	v_fma_f64 v[50:51], v[2:3], v[8:9], v[0:1]
	global_load_b128 v[8:11], v[4:5], off offset:1168
	ds_load_b128 v[0:3], v48 offset:16000
	s_waitcnt vmcnt(0) lgkmcnt(0)
	v_mul_f64 v[6:7], v[2:3], v[10:11]
	scratch_store_b128 off, v[8:11], off offset:1488 ; 16-byte Folded Spill
	v_fma_f64 v[64:65], v[0:1], v[8:9], -v[6:7]
	v_mul_f64 v[0:1], v[0:1], v[10:11]
	s_delay_alu instid0(VALU_DEP_1)
	v_fma_f64 v[66:67], v[2:3], v[8:9], v[0:1]
	global_load_b128 v[8:11], v[4:5], off offset:1184
	ds_load_b128 v[0:3], v48 offset:22000
	;; [unrolled: 9-line block ×3, first 2 shown]
	v_add_f64 v[14:15], v[50:51], v[68:69]
	s_waitcnt vmcnt(0) lgkmcnt(0)
	v_mul_f64 v[6:7], v[2:3], v[10:11]
	scratch_store_b128 off, v[8:11], off offset:1520 ; 16-byte Folded Spill
	v_fma_f64 v[76:77], v[0:1], v[8:9], -v[6:7]
	v_mul_f64 v[0:1], v[0:1], v[10:11]
	s_delay_alu instid0(VALU_DEP_1)
	v_fma_f64 v[78:79], v[2:3], v[8:9], v[0:1]
	global_load_b128 v[8:11], v[4:5], off offset:1216
	ds_load_b128 v[0:3], v48 offset:34000
	s_waitcnt vmcnt(0) lgkmcnt(0)
	v_mul_f64 v[6:7], v[2:3], v[10:11]
	scratch_store_b128 off, v[8:11], off offset:1540 ; 16-byte Folded Spill
	v_fma_f64 v[102:103], v[0:1], v[8:9], -v[6:7]
	v_mul_f64 v[0:1], v[0:1], v[10:11]
	s_delay_alu instid0(VALU_DEP_1)
	v_fma_f64 v[100:101], v[2:3], v[8:9], v[0:1]
	global_load_b128 v[8:11], v[4:5], off offset:1232
	ds_load_b128 v[0:3], v48 offset:40000
	v_add_f64 v[14:15], v[14:15], v[100:101]
	s_waitcnt vmcnt(0) lgkmcnt(0)
	v_mul_f64 v[6:7], v[2:3], v[10:11]
	scratch_store_b128 off, v[8:11], off offset:1556 ; 16-byte Folded Spill
	v_fma_f64 v[108:109], v[0:1], v[8:9], -v[6:7]
	v_mul_f64 v[0:1], v[0:1], v[10:11]
	s_delay_alu instid0(VALU_DEP_2) | instskip(NEXT) | instid1(VALU_DEP_2)
	v_add_f64 v[12:13], v[76:77], v[108:109]
	v_fma_f64 v[110:111], v[2:3], v[8:9], v[0:1]
	global_load_b128 v[8:11], v[4:5], off offset:1248
	ds_load_b128 v[0:3], v48 offset:46000
	s_waitcnt vmcnt(0) lgkmcnt(0)
	v_mul_f64 v[6:7], v[2:3], v[10:11]
	scratch_store_b128 off, v[8:11], off offset:1572 ; 16-byte Folded Spill
	v_fma_f64 v[114:115], v[0:1], v[8:9], -v[6:7]
	v_mul_f64 v[0:1], v[0:1], v[10:11]
	s_delay_alu instid0(VALU_DEP_1)
	v_fma_f64 v[112:113], v[2:3], v[8:9], v[0:1]
	global_load_b128 v[8:11], v[4:5], off offset:1264
	ds_load_b128 v[0:3], v48 offset:52000
	v_add_f64 v[14:15], v[14:15], v[112:113]
	s_waitcnt vmcnt(0) lgkmcnt(0)
	v_mul_f64 v[6:7], v[2:3], v[10:11]
	scratch_store_b128 off, v[8:11], off offset:1588 ; 16-byte Folded Spill
	v_fma_f64 v[116:117], v[0:1], v[8:9], -v[6:7]
	v_mul_f64 v[0:1], v[0:1], v[10:11]
	s_delay_alu instid0(VALU_DEP_1)
	v_fma_f64 v[118:119], v[2:3], v[8:9], v[0:1]
	global_load_b128 v[6:9], v[4:5], off offset:1280
	ds_load_b128 v[0:3], v48 offset:58000
	s_waitcnt vmcnt(0) lgkmcnt(0)
	v_mul_f64 v[4:5], v[2:3], v[8:9]
	scratch_store_b128 off, v[6:9], off offset:1604 ; 16-byte Folded Spill
	v_fma_f64 v[122:123], v[0:1], v[6:7], -v[4:5]
	v_mul_f64 v[0:1], v[0:1], v[8:9]
	v_add_f64 v[4:5], v[28:29], v[52:53]
	s_delay_alu instid0(VALU_DEP_2)
	v_fma_f64 v[120:121], v[2:3], v[6:7], v[0:1]
	ds_load_b128 v[0:3], v48
	v_add_f64 v[6:7], v[18:19], v[24:25]
	s_waitcnt lgkmcnt(0)
	v_fma_f64 v[150:151], v[4:5], -0.5, v[0:1]
	v_add_f64 v[4:5], v[20:21], v[72:73]
	v_add_f64 v[14:15], v[14:15], v[120:121]
	s_delay_alu instid0(VALU_DEP_4) | instskip(NEXT) | instid1(VALU_DEP_3)
	v_add_f64 v[6:7], v[6:7], v[44:45]
	v_fma_f64 v[128:129], v[4:5], -0.5, v[0:1]
	v_add_f64 v[4:5], v[30:31], v[54:55]
	v_add_f64 v[0:1], v[0:1], v[20:21]
	s_delay_alu instid0(VALU_DEP_4) | instskip(NEXT) | instid1(VALU_DEP_3)
	v_add_f64 v[6:7], v[6:7], v[56:57]
	v_fma_f64 v[126:127], v[4:5], -0.5, v[2:3]
	v_add_f64 v[4:5], v[22:23], v[74:75]
	s_delay_alu instid0(VALU_DEP_4) | instskip(NEXT) | instid1(VALU_DEP_4)
	v_add_f64 v[0:1], v[0:1], v[28:29]
	v_add_f64 v[6:7], v[6:7], v[92:93]
	s_delay_alu instid0(VALU_DEP_3) | instskip(SKIP_3) | instid1(VALU_DEP_3)
	v_fma_f64 v[130:131], v[4:5], -0.5, v[2:3]
	v_add_f64 v[4:5], v[16:17], v[26:27]
	v_add_f64 v[2:3], v[2:3], v[22:23]
	;; [unrolled: 1-line block ×4, first 2 shown]
	s_delay_alu instid0(VALU_DEP_3) | instskip(NEXT) | instid1(VALU_DEP_3)
	v_add_f64 v[2:3], v[2:3], v[30:31]
	v_add_f64 v[0:1], v[0:1], v[72:73]
	s_delay_alu instid0(VALU_DEP_3) | instskip(NEXT) | instid1(VALU_DEP_3)
	v_add_f64 v[4:5], v[4:5], v[58:59]
	v_add_f64 v[2:3], v[2:3], v[54:55]
	s_delay_alu instid0(VALU_DEP_2) | instskip(NEXT) | instid1(VALU_DEP_2)
	v_add_f64 v[4:5], v[4:5], v[94:95]
	v_add_f64 v[2:3], v[2:3], v[74:75]
	s_delay_alu instid0(VALU_DEP_2) | instskip(SKIP_2) | instid1(VALU_DEP_4)
	v_add_f64 v[162:163], v[0:1], v[4:5]
	v_add_f64 v[166:167], v[0:1], -v[4:5]
	v_add_f64 v[4:5], v[60:61], v[84:85]
	v_add_f64 v[164:165], v[2:3], v[6:7]
	v_add_f64 v[168:169], v[2:3], -v[6:7]
	ds_load_b128 v[0:3], v48 offset:2000
	v_add_f64 v[6:7], v[34:35], v[40:41]
	s_waitcnt lgkmcnt(0)
	v_fma_f64 v[132:133], v[4:5], -0.5, v[0:1]
	v_add_f64 v[4:5], v[36:37], v[96:97]
	s_delay_alu instid0(VALU_DEP_3) | instskip(NEXT) | instid1(VALU_DEP_2)
	v_add_f64 v[6:7], v[6:7], v[80:81]
	v_fma_f64 v[136:137], v[4:5], -0.5, v[0:1]
	v_add_f64 v[4:5], v[62:63], v[86:87]
	v_add_f64 v[0:1], v[0:1], v[36:37]
	s_delay_alu instid0(VALU_DEP_4) | instskip(NEXT) | instid1(VALU_DEP_3)
	v_add_f64 v[6:7], v[6:7], v[88:89]
	v_fma_f64 v[134:135], v[4:5], -0.5, v[2:3]
	v_add_f64 v[4:5], v[38:39], v[98:99]
	s_delay_alu instid0(VALU_DEP_4) | instskip(NEXT) | instid1(VALU_DEP_4)
	v_add_f64 v[0:1], v[0:1], v[60:61]
	v_add_f64 v[6:7], v[6:7], v[104:105]
	s_delay_alu instid0(VALU_DEP_3) | instskip(SKIP_3) | instid1(VALU_DEP_3)
	v_fma_f64 v[138:139], v[4:5], -0.5, v[2:3]
	v_add_f64 v[2:3], v[2:3], v[38:39]
	v_add_f64 v[4:5], v[32:33], v[42:43]
	;; [unrolled: 1-line block ×4, first 2 shown]
	s_delay_alu instid0(VALU_DEP_3) | instskip(NEXT) | instid1(VALU_DEP_3)
	v_add_f64 v[4:5], v[4:5], v[82:83]
	v_add_f64 v[8:9], v[0:1], v[96:97]
	s_delay_alu instid0(VALU_DEP_3) | instskip(NEXT) | instid1(VALU_DEP_3)
	v_add_f64 v[2:3], v[2:3], v[86:87]
	v_add_f64 v[4:5], v[4:5], v[90:91]
	s_delay_alu instid0(VALU_DEP_2) | instskip(NEXT) | instid1(VALU_DEP_2)
	v_add_f64 v[10:11], v[2:3], v[98:99]
	v_add_f64 v[4:5], v[4:5], v[106:107]
	s_delay_alu instid0(VALU_DEP_2) | instskip(NEXT) | instid1(VALU_DEP_2)
	v_add_f64 v[2:3], v[10:11], v[6:7]
	v_add_f64 v[0:1], v[8:9], v[4:5]
	v_add_f64 v[4:5], v[8:9], -v[4:5]
	v_add_f64 v[6:7], v[10:11], -v[6:7]
	ds_load_b128 v[8:11], v48 offset:4000
	s_waitcnt lgkmcnt(0)
	s_waitcnt_vscnt null, 0x0
	s_barrier
	buffer_gl0_inv
	ds_store_b128 v177, v[162:165]
	ds_store_b128 v177, v[166:169] offset:6000
	v_add_f64 v[163:164], v[74:75], -v[54:55]
	v_fma_f64 v[140:141], v[12:13], -0.5, v[8:9]
	v_add_f64 v[12:13], v[64:65], v[116:117]
	s_delay_alu instid0(VALU_DEP_1) | instskip(SKIP_2) | instid1(VALU_DEP_2)
	v_fma_f64 v[144:145], v[12:13], -0.5, v[8:9]
	v_add_f64 v[12:13], v[78:79], v[110:111]
	v_add_f64 v[8:9], v[8:9], v[64:65]
	v_fma_f64 v[142:143], v[12:13], -0.5, v[10:11]
	v_add_f64 v[12:13], v[66:67], v[118:119]
	s_delay_alu instid0(VALU_DEP_3) | instskip(NEXT) | instid1(VALU_DEP_2)
	v_add_f64 v[8:9], v[8:9], v[76:77]
	v_fma_f64 v[146:147], v[12:13], -0.5, v[10:11]
	v_add_f64 v[12:13], v[148:149], v[70:71]
	v_add_f64 v[10:11], v[10:11], v[66:67]
	s_delay_alu instid0(VALU_DEP_4) | instskip(NEXT) | instid1(VALU_DEP_3)
	v_add_f64 v[8:9], v[8:9], v[108:109]
	v_add_f64 v[12:13], v[12:13], v[102:103]
	s_delay_alu instid0(VALU_DEP_3) | instskip(NEXT) | instid1(VALU_DEP_3)
	v_add_f64 v[10:11], v[10:11], v[78:79]
	v_add_f64 v[160:161], v[8:9], v[116:117]
	s_delay_alu instid0(VALU_DEP_3) | instskip(NEXT) | instid1(VALU_DEP_3)
	v_add_f64 v[12:13], v[12:13], v[114:115]
	v_add_f64 v[10:11], v[10:11], v[110:111]
	s_delay_alu instid0(VALU_DEP_2) | instskip(NEXT) | instid1(VALU_DEP_2)
	v_add_f64 v[12:13], v[12:13], v[122:123]
	v_add_f64 v[170:171], v[10:11], v[118:119]
	s_delay_alu instid0(VALU_DEP_2)
	v_add_f64 v[8:9], v[160:161], v[12:13]
	v_add_f64 v[12:13], v[160:161], -v[12:13]
	v_add_f64 v[159:160], v[20:21], -v[28:29]
	;; [unrolled: 1-line block ×3, first 2 shown]
	v_add_f64 v[10:11], v[170:171], v[14:15]
	v_add_f64 v[14:15], v[170:171], -v[14:15]
	v_add_f64 v[20:21], v[28:29], -v[20:21]
	;; [unrolled: 1-line block ×4, first 2 shown]
	v_add_f64 v[159:160], v[159:160], v[161:162]
	v_add_f64 v[161:162], v[22:23], -v[30:31]
	v_add_f64 v[22:23], v[30:31], -v[22:23]
	;; [unrolled: 1-line block ×4, first 2 shown]
	v_add_f64 v[28:29], v[20:21], v[28:29]
	v_add_f64 v[170:171], v[161:162], v[163:164]
	v_add_f64 v[161:162], v[26:27], -v[46:47]
	v_add_f64 v[163:164], v[94:95], -v[58:59]
	v_add_f64 v[30:31], v[22:23], v[30:31]
	s_delay_alu instid0(VALU_DEP_2) | instskip(SKIP_2) | instid1(VALU_DEP_1)
	v_add_f64 v[172:173], v[161:162], v[163:164]
	v_add_f64 v[161:162], v[24:25], -v[44:45]
	v_add_f64 v[163:164], v[92:93], -v[56:57]
	v_add_f64 v[175:176], v[161:162], v[163:164]
	v_add_f64 v[161:162], v[46:47], v[58:59]
	v_add_f64 v[46:47], v[46:47], -v[26:27]
	v_add_f64 v[26:27], v[26:27], v[94:95]
	s_delay_alu instid0(VALU_DEP_3)
	v_fma_f64 v[178:179], v[161:162], -0.5, v[16:17]
	v_add_f64 v[161:162], v[44:45], v[56:57]
	v_add_f64 v[44:45], v[44:45], -v[24:25]
	v_add_f64 v[24:25], v[24:25], v[92:93]
	v_fma_f64 v[26:27], v[26:27], -0.5, v[16:17]
	v_add_f64 v[46:47], v[46:47], v[52:53]
	v_fma_f64 v[163:164], v[220:221], s[12:13], v[178:179]
	v_fma_f64 v[201:202], v[161:162], -0.5, v[18:19]
	v_add_f64 v[44:45], v[44:45], v[54:55]
	v_fma_f64 v[24:25], v[24:25], -0.5, v[18:19]
	v_fma_f64 v[18:19], v[222:223], s[14:15], v[26:27]
	v_fma_f64 v[26:27], v[222:223], s[12:13], v[26:27]
	;; [unrolled: 1-line block ×16, first 2 shown]
	s_delay_alu instid0(VALU_DEP_3) | instskip(SKIP_1) | instid1(VALU_DEP_4)
	v_fma_f64 v[24:25], v[44:45], s[16:17], v[24:25]
	v_mul_f64 v[44:45], v[26:27], s[24:25]
	v_mul_f64 v[165:166], v[161:162], s[2:3]
	s_delay_alu instid0(VALU_DEP_4) | instskip(NEXT) | instid1(VALU_DEP_3)
	v_mul_f64 v[20:21], v[16:17], s[12:13]
	v_fma_f64 v[44:45], v[24:25], s[12:13], v[44:45]
	v_mul_f64 v[24:25], v[24:25], s[24:25]
	s_delay_alu instid0(VALU_DEP_4) | instskip(SKIP_4) | instid1(VALU_DEP_4)
	v_fma_f64 v[166:167], v[163:164], s[22:23], v[165:166]
	v_mul_f64 v[163:164], v[163:164], s[8:9]
	v_fma_f64 v[20:21], v[18:19], s[16:17], v[20:21]
	v_mul_f64 v[18:19], v[18:19], s[14:15]
	v_fma_f64 v[46:47], v[26:27], s[14:15], v[24:25]
	v_fma_f64 v[168:169], v[161:162], s[22:23], v[163:164]
	;; [unrolled: 1-line block ×3, first 2 shown]
	s_delay_alu instid0(VALU_DEP_4) | instskip(SKIP_4) | instid1(VALU_DEP_4)
	v_fma_f64 v[22:23], v[16:17], s[16:17], v[18:19]
	v_fma_f64 v[16:17], v[226:227], s[14:15], v[128:129]
	;; [unrolled: 1-line block ×6, first 2 shown]
	s_delay_alu instid0(VALU_DEP_4) | instskip(NEXT) | instid1(VALU_DEP_4)
	v_fma_f64 v[18:19], v[228:229], s[8:9], v[18:19]
	v_fma_f64 v[161:162], v[226:227], s[2:3], v[161:162]
	s_delay_alu instid0(VALU_DEP_4) | instskip(NEXT) | instid1(VALU_DEP_4)
	v_fma_f64 v[234:235], v[170:171], s[16:17], v[163:164]
	v_fma_f64 v[52:53], v[28:29], s[16:17], v[16:17]
	;; [unrolled: 3-line block ×3, first 2 shown]
	s_delay_alu instid0(VALU_DEP_4)
	v_add_f64 v[164:165], v[234:235], v[168:169]
	v_add_f64 v[168:169], v[234:235], -v[168:169]
	v_add_f64 v[16:17], v[52:53], v[20:21]
	v_add_f64 v[20:21], v[52:53], -v[20:21]
	v_fma_f64 v[52:53], v[226:227], s[12:13], v[128:129]
	v_add_f64 v[18:19], v[54:55], v[22:23]
	v_add_f64 v[22:23], v[54:55], -v[22:23]
	v_fma_f64 v[54:55], v[216:217], s[12:13], v[201:202]
	v_add_f64 v[201:202], v[62:63], -v[86:87]
	v_add_f64 v[216:217], v[36:37], -v[96:97]
	v_add_f64 v[162:163], v[232:233], v[166:167]
	v_add_f64 v[166:167], v[232:233], -v[166:167]
	v_fma_f64 v[52:53], v[224:225], s[8:9], v[52:53]
	v_fma_f64 v[54:55], v[218:219], s[2:3], v[54:55]
	v_add_f64 v[218:219], v[60:61], -v[84:85]
	s_delay_alu instid0(VALU_DEP_3) | instskip(SKIP_1) | instid1(VALU_DEP_2)
	v_fma_f64 v[28:29], v[28:29], s[16:17], v[52:53]
	v_fma_f64 v[52:53], v[230:231], s[14:15], v[130:131]
	v_add_f64 v[24:25], v[28:29], v[44:45]
	s_delay_alu instid0(VALU_DEP_2) | instskip(SKIP_3) | instid1(VALU_DEP_4)
	v_fma_f64 v[52:53], v[228:229], s[2:3], v[52:53]
	v_add_f64 v[28:29], v[28:29], -v[44:45]
	v_fma_f64 v[44:45], v[220:221], s[14:15], v[178:179]
	v_add_f64 v[178:179], v[38:39], -v[98:99]
	v_fma_f64 v[30:31], v[30:31], s[16:17], v[52:53]
	v_fma_f64 v[52:53], v[228:229], s[12:13], v[126:127]
	s_delay_alu instid0(VALU_DEP_4) | instskip(NEXT) | instid1(VALU_DEP_3)
	v_fma_f64 v[44:45], v[222:223], s[8:9], v[44:45]
	v_add_f64 v[26:27], v[30:31], v[46:47]
	v_add_f64 v[30:31], v[30:31], -v[46:47]
	v_fma_f64 v[46:47], v[224:225], s[14:15], v[150:151]
	v_fma_f64 v[52:53], v[230:231], s[2:3], v[52:53]
	;; [unrolled: 1-line block ×3, first 2 shown]
	v_add_f64 v[172:173], v[40:41], -v[104:105]
	s_delay_alu instid0(VALU_DEP_4) | instskip(NEXT) | instid1(VALU_DEP_4)
	v_fma_f64 v[46:47], v[226:227], s[8:9], v[46:47]
	v_fma_f64 v[58:59], v[170:171], s[16:17], v[52:53]
	s_delay_alu instid0(VALU_DEP_4) | instskip(SKIP_1) | instid1(VALU_DEP_4)
	v_mul_f64 v[52:53], v[44:45], s[26:27]
	v_add_f64 v[170:171], v[82:83], -v[90:91]
	v_fma_f64 v[56:57], v[159:160], s[16:17], v[46:47]
	v_fma_f64 v[46:47], v[175:176], s[16:17], v[54:55]
	v_add_f64 v[175:176], v[80:81], -v[88:89]
	v_add_f64 v[159:160], v[42:43], -v[106:107]
	s_delay_alu instid0(VALU_DEP_3) | instskip(SKIP_1) | instid1(VALU_DEP_1)
	v_fma_f64 v[52:53], v[46:47], s[2:3], v[52:53]
	v_mul_f64 v[46:47], v[46:47], s[26:27]
	v_fma_f64 v[54:55], v[44:45], s[8:9], v[46:47]
	s_delay_alu instid0(VALU_DEP_3)
	v_add_f64 v[44:45], v[56:57], v[52:53]
	v_add_f64 v[52:53], v[56:57], -v[52:53]
	v_add_f64 v[56:57], v[36:37], -v[60:61]
	;; [unrolled: 1-line block ×4, first 2 shown]
	v_add_f64 v[46:47], v[58:59], v[54:55]
	v_add_f64 v[54:55], v[58:59], -v[54:55]
	v_add_f64 v[58:59], v[96:97], -v[84:85]
	;; [unrolled: 1-line block ×3, first 2 shown]
	ds_store_b128 v177, v[162:165] offset:1200
	ds_store_b128 v177, v[16:19] offset:2400
	;; [unrolled: 1-line block ×8, first 2 shown]
	v_add_f64 v[60:61], v[36:37], v[60:61]
	v_and_b32_e32 v16, 0xffff, v155
	v_add_f64 v[92:93], v[56:57], v[58:59]
	v_add_f64 v[56:57], v[38:39], -v[62:63]
	v_add_f64 v[58:59], v[98:99], -v[86:87]
	;; [unrolled: 1-line block ×5, first 2 shown]
	v_mul_u32_u24_e32 v16, 0x2ee, v16
	s_delay_alu instid0(VALU_DEP_1) | instskip(SKIP_4) | instid1(VALU_DEP_2)
	v_add_lshl_u32 v155, v16, v156, 4
	v_add_f64 v[94:95], v[56:57], v[58:59]
	v_add_f64 v[56:57], v[42:43], -v[82:83]
	v_add_f64 v[58:59], v[106:107], -v[90:91]
	v_add_f64 v[62:63], v[38:39], v[62:63]
	v_add_f64 v[125:126], v[56:57], v[58:59]
	v_add_f64 v[56:57], v[40:41], -v[80:81]
	v_add_f64 v[58:59], v[104:105], -v[88:89]
	s_delay_alu instid0(VALU_DEP_1) | instskip(SKIP_3) | instid1(VALU_DEP_3)
	v_add_f64 v[127:128], v[56:57], v[58:59]
	v_add_f64 v[56:57], v[82:83], v[90:91]
	v_add_f64 v[82:83], v[82:83], -v[42:43]
	v_add_f64 v[42:43], v[42:43], v[106:107]
	v_fma_f64 v[129:130], v[56:57], -0.5, v[32:33]
	v_add_f64 v[56:57], v[80:81], v[88:89]
	v_add_f64 v[80:81], v[80:81], -v[40:41]
	v_add_f64 v[40:41], v[40:41], v[104:105]
	v_fma_f64 v[42:43], v[42:43], -0.5, v[32:33]
	v_add_f64 v[82:83], v[82:83], v[84:85]
	v_fma_f64 v[58:59], v[172:173], s[12:13], v[129:130]
	v_fma_f64 v[150:151], v[56:57], -0.5, v[34:35]
	v_add_f64 v[80:81], v[80:81], v[86:87]
	v_fma_f64 v[40:41], v[40:41], -0.5, v[34:35]
	v_fma_f64 v[34:35], v[175:176], s[14:15], v[42:43]
	v_fma_f64 v[42:43], v[175:176], s[12:13], v[42:43]
	;; [unrolled: 1-line block ×16, first 2 shown]
	s_delay_alu instid0(VALU_DEP_3) | instskip(SKIP_1) | instid1(VALU_DEP_4)
	v_fma_f64 v[40:41], v[80:81], s[16:17], v[40:41]
	v_mul_f64 v[80:81], v[42:43], s[24:25]
	v_mul_f64 v[72:73], v[56:57], s[2:3]
	s_delay_alu instid0(VALU_DEP_4) | instskip(NEXT) | instid1(VALU_DEP_3)
	v_mul_f64 v[36:37], v[32:33], s[12:13]
	v_fma_f64 v[80:81], v[40:41], s[12:13], v[80:81]
	v_mul_f64 v[40:41], v[40:41], s[24:25]
	s_delay_alu instid0(VALU_DEP_4) | instskip(SKIP_4) | instid1(VALU_DEP_4)
	v_fma_f64 v[72:73], v[58:59], s[22:23], v[72:73]
	v_mul_f64 v[58:59], v[58:59], s[8:9]
	v_fma_f64 v[36:37], v[34:35], s[16:17], v[36:37]
	v_mul_f64 v[34:35], v[34:35], s[14:15]
	v_fma_f64 v[82:83], v[42:43], s[14:15], v[40:41]
	v_fma_f64 v[74:75], v[56:57], s[22:23], v[58:59]
	;; [unrolled: 1-line block ×3, first 2 shown]
	s_delay_alu instid0(VALU_DEP_4) | instskip(SKIP_4) | instid1(VALU_DEP_4)
	v_fma_f64 v[38:39], v[32:33], s[16:17], v[34:35]
	v_fma_f64 v[32:33], v[201:202], s[14:15], v[136:137]
	;; [unrolled: 1-line block ×6, first 2 shown]
	s_delay_alu instid0(VALU_DEP_4) | instskip(NEXT) | instid1(VALU_DEP_4)
	v_fma_f64 v[34:35], v[216:217], s[8:9], v[34:35]
	v_fma_f64 v[58:59], v[218:219], s[8:9], v[58:59]
	s_delay_alu instid0(VALU_DEP_4) | instskip(NEXT) | instid1(VALU_DEP_4)
	v_fma_f64 v[220:221], v[92:93], s[16:17], v[56:57]
	v_fma_f64 v[84:85], v[60:61], s[16:17], v[32:33]
	;; [unrolled: 3-line block ×3, first 2 shown]
	s_delay_alu instid0(VALU_DEP_4)
	v_add_f64 v[56:57], v[220:221], v[72:73]
	v_add_f64 v[72:73], v[220:221], -v[72:73]
	v_add_f64 v[32:33], v[84:85], v[36:37]
	v_add_f64 v[36:37], v[84:85], -v[36:37]
	v_fma_f64 v[84:85], v[201:202], s[12:13], v[136:137]
	v_add_f64 v[34:35], v[86:87], v[38:39]
	v_add_f64 v[38:39], v[86:87], -v[38:39]
	v_fma_f64 v[86:87], v[159:160], s[12:13], v[150:151]
	v_add_f64 v[150:151], v[100:101], -v[112:113]
	v_add_f64 v[159:160], v[66:67], -v[118:119]
	v_add_f64 v[58:59], v[222:223], v[74:75]
	v_add_f64 v[74:75], v[222:223], -v[74:75]
	v_fma_f64 v[84:85], v[178:179], s[8:9], v[84:85]
	v_fma_f64 v[86:87], v[170:171], s[2:3], v[86:87]
	v_add_f64 v[170:171], v[78:79], -v[110:111]
	s_delay_alu instid0(VALU_DEP_3) | instskip(SKIP_2) | instid1(VALU_DEP_3)
	v_fma_f64 v[60:61], v[60:61], s[16:17], v[84:85]
	v_fma_f64 v[84:85], v[218:219], s[14:15], v[138:139]
	v_add_f64 v[137:138], v[68:69], -v[120:121]
	v_add_f64 v[40:41], v[60:61], v[80:81]
	s_delay_alu instid0(VALU_DEP_3) | instskip(SKIP_3) | instid1(VALU_DEP_4)
	v_fma_f64 v[84:85], v[216:217], s[2:3], v[84:85]
	v_add_f64 v[60:61], v[60:61], -v[80:81]
	v_fma_f64 v[80:81], v[172:173], s[14:15], v[129:130]
	v_add_f64 v[172:173], v[64:65], -v[116:117]
	v_fma_f64 v[62:63], v[62:63], s[16:17], v[84:85]
	v_fma_f64 v[84:85], v[216:217], s[12:13], v[134:135]
	s_delay_alu instid0(VALU_DEP_4)
	v_fma_f64 v[80:81], v[175:176], s[8:9], v[80:81]
	v_add_f64 v[135:136], v[102:103], -v[114:115]
	v_add_f64 v[175:176], v[76:77], -v[108:109]
	v_add_f64 v[42:43], v[62:63], v[82:83]
	v_add_f64 v[62:63], v[62:63], -v[82:83]
	v_fma_f64 v[82:83], v[178:179], s[14:15], v[132:133]
	v_fma_f64 v[84:85], v[218:219], s[2:3], v[84:85]
	;; [unrolled: 1-line block ×3, first 2 shown]
	v_add_f64 v[133:134], v[70:71], -v[122:123]
	s_delay_alu instid0(VALU_DEP_4) | instskip(NEXT) | instid1(VALU_DEP_4)
	v_fma_f64 v[82:83], v[201:202], s[8:9], v[82:83]
	v_fma_f64 v[90:91], v[94:95], s[16:17], v[84:85]
	s_delay_alu instid0(VALU_DEP_4) | instskip(NEXT) | instid1(VALU_DEP_3)
	v_mul_f64 v[84:85], v[80:81], s[26:27]
	v_fma_f64 v[88:89], v[92:93], s[16:17], v[82:83]
	v_fma_f64 v[82:83], v[127:128], s[16:17], v[86:87]
	s_delay_alu instid0(VALU_DEP_1) | instskip(SKIP_1) | instid1(VALU_DEP_1)
	v_fma_f64 v[84:85], v[82:83], s[2:3], v[84:85]
	v_mul_f64 v[82:83], v[82:83], s[26:27]
	v_fma_f64 v[86:87], v[80:81], s[8:9], v[82:83]
	s_delay_alu instid0(VALU_DEP_3)
	v_add_f64 v[80:81], v[88:89], v[84:85]
	v_add_f64 v[84:85], v[88:89], -v[84:85]
	v_add_f64 v[88:89], v[64:65], -v[76:77]
	;; [unrolled: 1-line block ×4, first 2 shown]
	v_add_f64 v[82:83], v[90:91], v[86:87]
	v_add_f64 v[86:87], v[90:91], -v[86:87]
	v_add_f64 v[90:91], v[116:117], -v[108:109]
	ds_store_b128 v155, v[0:3]
	ds_store_b128 v155, v[56:59] offset:1200
	ds_store_b128 v155, v[32:35] offset:2400
	;; [unrolled: 1-line block ×9, first 2 shown]
	v_add_f64 v[76:77], v[64:65], v[76:77]
	v_mad_u16 v0, 0x2ee, v157, v158
	v_add_f64 v[104:105], v[88:89], v[90:91]
	v_add_f64 v[88:89], v[66:67], -v[78:79]
	v_add_f64 v[90:91], v[118:119], -v[110:111]
	;; [unrolled: 1-line block ×4, first 2 shown]
	v_and_b32_e32 v0, 0xffff, v0
	s_delay_alu instid0(VALU_DEP_4) | instskip(SKIP_3) | instid1(VALU_DEP_2)
	v_add_f64 v[106:107], v[88:89], v[90:91]
	v_add_f64 v[88:89], v[70:71], -v[102:103]
	v_add_f64 v[90:91], v[122:123], -v[114:115]
	v_add_f64 v[78:79], v[66:67], v[78:79]
	v_add_f64 v[125:126], v[88:89], v[90:91]
	v_add_f64 v[88:89], v[68:69], -v[100:101]
	v_add_f64 v[90:91], v[120:121], -v[112:113]
	s_delay_alu instid0(VALU_DEP_1) | instskip(SKIP_1) | instid1(VALU_DEP_1)
	v_add_f64 v[127:128], v[88:89], v[90:91]
	v_add_f64 v[88:89], v[102:103], v[114:115]
	v_fma_f64 v[129:130], v[88:89], -0.5, v[148:149]
	v_add_f64 v[88:89], v[100:101], v[112:113]
	v_add_f64 v[100:101], v[100:101], -v[68:69]
	v_add_f64 v[68:69], v[68:69], v[120:121]
	s_delay_alu instid0(VALU_DEP_4) | instskip(NEXT) | instid1(VALU_DEP_4)
	v_fma_f64 v[90:91], v[137:138], s[12:13], v[129:130]
	v_fma_f64 v[131:132], v[88:89], -0.5, v[50:51]
	s_delay_alu instid0(VALU_DEP_3) | instskip(NEXT) | instid1(VALU_DEP_3)
	v_fma_f64 v[50:51], v[68:69], -0.5, v[50:51]
	v_fma_f64 v[90:91], v[150:151], s[2:3], v[90:91]
	s_delay_alu instid0(VALU_DEP_3) | instskip(NEXT) | instid1(VALU_DEP_3)
	v_fma_f64 v[88:89], v[133:134], s[14:15], v[131:132]
	v_fma_f64 v[64:65], v[135:136], s[12:13], v[50:51]
	;; [unrolled: 1-line block ×3, first 2 shown]
	s_delay_alu instid0(VALU_DEP_4) | instskip(NEXT) | instid1(VALU_DEP_4)
	v_fma_f64 v[90:91], v[125:126], s[16:17], v[90:91]
	v_fma_f64 v[88:89], v[135:136], s[8:9], v[88:89]
	s_delay_alu instid0(VALU_DEP_4) | instskip(NEXT) | instid1(VALU_DEP_4)
	v_fma_f64 v[64:65], v[133:134], s[8:9], v[64:65]
	v_fma_f64 v[50:51], v[133:134], s[2:3], v[50:51]
	s_delay_alu instid0(VALU_DEP_3) | instskip(NEXT) | instid1(VALU_DEP_1)
	v_fma_f64 v[88:89], v[127:128], s[16:17], v[88:89]
	v_mul_f64 v[92:93], v[88:89], s[2:3]
	s_delay_alu instid0(VALU_DEP_1) | instskip(SKIP_1) | instid1(VALU_DEP_1)
	v_fma_f64 v[92:93], v[90:91], s[22:23], v[92:93]
	v_mul_f64 v[90:91], v[90:91], s[8:9]
	v_fma_f64 v[94:95], v[88:89], s[22:23], v[90:91]
	v_fma_f64 v[88:89], v[159:160], s[12:13], v[140:141]
	;; [unrolled: 1-line block ×3, first 2 shown]
	s_delay_alu instid0(VALU_DEP_2) | instskip(NEXT) | instid1(VALU_DEP_2)
	v_fma_f64 v[88:89], v[170:171], s[2:3], v[88:89]
	v_fma_f64 v[90:91], v[175:176], s[8:9], v[90:91]
	s_delay_alu instid0(VALU_DEP_2) | instskip(NEXT) | instid1(VALU_DEP_2)
	v_fma_f64 v[96:97], v[104:105], s[16:17], v[88:89]
	v_fma_f64 v[98:99], v[106:107], s[16:17], v[90:91]
	s_delay_alu instid0(VALU_DEP_2)
	v_add_f64 v[88:89], v[96:97], v[92:93]
	v_add_f64 v[92:93], v[96:97], -v[92:93]
	v_add_f64 v[96:97], v[102:103], -v[70:71]
	v_add_f64 v[70:71], v[70:71], v[122:123]
	v_add_f64 v[90:91], v[98:99], v[94:95]
	v_add_f64 v[94:95], v[98:99], -v[94:95]
	v_add_f64 v[98:99], v[114:115], -v[122:123]
	;; [unrolled: 1-line block ×3, first 2 shown]
	v_fma_f64 v[108:109], v[70:71], -0.5, v[148:149]
	s_delay_alu instid0(VALU_DEP_3) | instskip(NEXT) | instid1(VALU_DEP_3)
	v_add_f64 v[96:97], v[96:97], v[98:99]
	v_add_f64 v[98:99], v[100:101], v[102:103]
	s_delay_alu instid0(VALU_DEP_3) | instskip(NEXT) | instid1(VALU_DEP_2)
	v_fma_f64 v[66:67], v[150:151], s[14:15], v[108:109]
	v_fma_f64 v[64:65], v[98:99], s[16:17], v[64:65]
	;; [unrolled: 1-line block ×3, first 2 shown]
	s_delay_alu instid0(VALU_DEP_3) | instskip(NEXT) | instid1(VALU_DEP_3)
	v_fma_f64 v[66:67], v[137:138], s[2:3], v[66:67]
	v_mul_f64 v[68:69], v[64:65], s[12:13]
	s_delay_alu instid0(VALU_DEP_2) | instskip(NEXT) | instid1(VALU_DEP_1)
	v_fma_f64 v[66:67], v[96:97], s[16:17], v[66:67]
	v_fma_f64 v[68:69], v[66:67], s[16:17], v[68:69]
	v_mul_f64 v[66:67], v[66:67], s[14:15]
	s_delay_alu instid0(VALU_DEP_1) | instskip(SKIP_2) | instid1(VALU_DEP_2)
	v_fma_f64 v[70:71], v[64:65], s[16:17], v[66:67]
	v_fma_f64 v[64:65], v[170:171], s[14:15], v[144:145]
	;; [unrolled: 1-line block ×4, first 2 shown]
	s_delay_alu instid0(VALU_DEP_2) | instskip(NEXT) | instid1(VALU_DEP_2)
	v_fma_f64 v[66:67], v[172:173], s[8:9], v[66:67]
	v_fma_f64 v[100:101], v[76:77], s[16:17], v[64:65]
	s_delay_alu instid0(VALU_DEP_2) | instskip(NEXT) | instid1(VALU_DEP_2)
	v_fma_f64 v[102:103], v[78:79], s[16:17], v[66:67]
	v_add_f64 v[64:65], v[100:101], v[68:69]
	v_add_f64 v[68:69], v[100:101], -v[68:69]
	v_fma_f64 v[100:101], v[170:171], s[12:13], v[144:145]
	s_delay_alu instid0(VALU_DEP_4) | instskip(SKIP_1) | instid1(VALU_DEP_3)
	v_add_f64 v[66:67], v[102:103], v[70:71]
	v_add_f64 v[70:71], v[102:103], -v[70:71]
	v_fma_f64 v[100:101], v[159:160], s[8:9], v[100:101]
	s_delay_alu instid0(VALU_DEP_1) | instskip(SKIP_1) | instid1(VALU_DEP_1)
	v_fma_f64 v[100:101], v[76:77], s[16:17], v[100:101]
	v_fma_f64 v[76:77], v[175:176], s[14:15], v[146:147]
	;; [unrolled: 1-line block ×3, first 2 shown]
	s_delay_alu instid0(VALU_DEP_1) | instskip(SKIP_2) | instid1(VALU_DEP_2)
	v_fma_f64 v[102:103], v[78:79], s[16:17], v[76:77]
	v_fma_f64 v[76:77], v[150:151], s[12:13], v[108:109]
	;; [unrolled: 1-line block ×4, first 2 shown]
	s_delay_alu instid0(VALU_DEP_2) | instskip(NEXT) | instid1(VALU_DEP_2)
	v_fma_f64 v[108:109], v[135:136], s[2:3], v[108:109]
	v_fma_f64 v[76:77], v[96:97], s[16:17], v[76:77]
	s_delay_alu instid0(VALU_DEP_1) | instskip(NEXT) | instid1(VALU_DEP_1)
	v_mul_f64 v[78:79], v[76:77], s[24:25]
	v_fma_f64 v[96:97], v[50:51], s[12:13], v[78:79]
	v_mul_f64 v[50:51], v[50:51], s[24:25]
	s_delay_alu instid0(VALU_DEP_1) | instskip(NEXT) | instid1(VALU_DEP_3)
	v_fma_f64 v[50:51], v[76:77], s[14:15], v[50:51]
	v_add_f64 v[76:77], v[100:101], v[96:97]
	v_add_f64 v[96:97], v[100:101], -v[96:97]
	v_fma_f64 v[100:101], v[159:160], s[14:15], v[140:141]
	s_delay_alu instid0(VALU_DEP_4) | instskip(SKIP_4) | instid1(VALU_DEP_3)
	v_add_f64 v[78:79], v[102:103], v[50:51]
	v_add_f64 v[98:99], v[102:103], -v[50:51]
	v_fma_f64 v[50:51], v[137:138], s[14:15], v[129:130]
	v_fma_f64 v[102:103], v[172:173], s[12:13], v[142:143]
	;; [unrolled: 1-line block ×4, first 2 shown]
	s_delay_alu instid0(VALU_DEP_3) | instskip(NEXT) | instid1(VALU_DEP_3)
	v_fma_f64 v[102:103], v[175:176], s[2:3], v[102:103]
	v_fma_f64 v[104:105], v[104:105], s[16:17], v[100:101]
	;; [unrolled: 1-line block ×3, first 2 shown]
	v_lshlrev_b32_e32 v176, 4, v0
	v_lshlrev_b32_e32 v0, 6, v152
	s_delay_alu instid0(VALU_DEP_1) | instskip(NEXT) | instid1(VALU_DEP_1)
	v_add_co_u32 v6, s28, s10, v0
	v_add_co_ci_u32_e64 v7, null, s11, 0, s28
	s_delay_alu instid0(VALU_DEP_2) | instskip(NEXT) | instid1(VALU_DEP_2)
	v_add_co_u32 v0, vcc_lo, 0x2000, v6
	v_add_co_ci_u32_e32 v1, vcc_lo, 0, v7, vcc_lo
	v_fma_f64 v[50:51], v[125:126], s[16:17], v[50:51]
	v_fma_f64 v[106:107], v[106:107], s[16:17], v[102:103]
	s_delay_alu instid0(VALU_DEP_2) | instskip(NEXT) | instid1(VALU_DEP_1)
	v_mul_f64 v[102:103], v[50:51], s[26:27]
	v_fma_f64 v[108:109], v[100:101], s[2:3], v[102:103]
	v_mul_f64 v[100:101], v[100:101], s[26:27]
	s_delay_alu instid0(VALU_DEP_1) | instskip(NEXT) | instid1(VALU_DEP_3)
	v_fma_f64 v[50:51], v[50:51], s[8:9], v[100:101]
	v_add_f64 v[100:101], v[104:105], v[108:109]
	v_add_f64 v[104:105], v[104:105], -v[108:109]
	s_delay_alu instid0(VALU_DEP_3)
	v_add_f64 v[102:103], v[106:107], v[50:51]
	v_add_f64 v[106:107], v[106:107], -v[50:51]
	ds_store_b128 v176, v[8:11]
	ds_store_b128 v176, v[88:91] offset:1200
	ds_store_b128 v176, v[64:67] offset:2400
	;; [unrolled: 1-line block ×9, first 2 shown]
	s_waitcnt lgkmcnt(0)
	s_barrier
	buffer_gl0_inv
	global_load_b128 v[8:11], v[0:1], off offset:3760
	ds_load_b128 v[0:3], v48 offset:12000
	s_waitcnt vmcnt(0) lgkmcnt(0)
	v_mul_f64 v[4:5], v[2:3], v[10:11]
	scratch_store_b128 off, v[8:11], off offset:1668 ; 16-byte Folded Spill
	v_fma_f64 v[26:27], v[0:1], v[8:9], -v[4:5]
	v_mul_f64 v[0:1], v[0:1], v[10:11]
	v_add_co_u32 v4, vcc_lo, 0x2eb0, v6
	v_add_co_ci_u32_e32 v5, vcc_lo, 0, v7, vcc_lo
	s_delay_alu instid0(VALU_DEP_3)
	v_fma_f64 v[28:29], v[2:3], v[8:9], v[0:1]
	global_load_b128 v[8:11], v[4:5], off offset:16
	ds_load_b128 v[0:3], v48 offset:24000
	s_waitcnt vmcnt(0) lgkmcnt(0)
	v_mul_f64 v[6:7], v[2:3], v[10:11]
	scratch_store_b128 off, v[8:11], off offset:1652 ; 16-byte Folded Spill
	v_fma_f64 v[32:33], v[0:1], v[8:9], -v[6:7]
	v_mul_f64 v[0:1], v[0:1], v[10:11]
	s_delay_alu instid0(VALU_DEP_1)
	v_fma_f64 v[34:35], v[2:3], v[8:9], v[0:1]
	global_load_b128 v[8:11], v[4:5], off offset:32
	ds_load_b128 v[0:3], v48 offset:36000
	s_waitcnt vmcnt(0) lgkmcnt(0)
	v_mul_f64 v[6:7], v[2:3], v[10:11]
	scratch_store_b128 off, v[8:11], off offset:1636 ; 16-byte Folded Spill
	v_fma_f64 v[36:37], v[0:1], v[8:9], -v[6:7]
	v_mul_f64 v[0:1], v[0:1], v[10:11]
	s_delay_alu instid0(VALU_DEP_2) | instskip(NEXT) | instid1(VALU_DEP_2)
	v_add_f64 v[82:83], v[32:33], v[36:37]
	v_fma_f64 v[38:39], v[2:3], v[8:9], v[0:1]
	global_load_b128 v[6:9], v[4:5], off offset:48
	ds_load_b128 v[0:3], v48 offset:48000
	v_add_f64 v[94:95], v[32:33], -v[36:37]
	v_add_f64 v[84:85], v[34:35], v[38:39]
	v_add_f64 v[88:89], v[34:35], -v[38:39]
	s_waitcnt vmcnt(0) lgkmcnt(0)
	v_mul_f64 v[4:5], v[2:3], v[8:9]
	scratch_store_b128 off, v[6:9], off offset:1620 ; 16-byte Folded Spill
	v_fma_f64 v[40:41], v[0:1], v[6:7], -v[4:5]
	v_mul_f64 v[0:1], v[0:1], v[8:9]
	s_delay_alu instid0(VALU_DEP_2) | instskip(NEXT) | instid1(VALU_DEP_2)
	v_add_f64 v[92:93], v[26:27], -v[40:41]
	v_fma_f64 v[42:43], v[2:3], v[6:7], v[0:1]
	v_lshlrev_b32_e32 v0, 6, v153
	s_delay_alu instid0(VALU_DEP_1) | instskip(NEXT) | instid1(VALU_DEP_1)
	v_add_co_u32 v8, s28, s10, v0
	v_add_co_ci_u32_e64 v9, null, s11, 0, s28
	s_delay_alu instid0(VALU_DEP_2) | instskip(NEXT) | instid1(VALU_DEP_2)
	v_add_co_u32 v0, vcc_lo, 0x2000, v8
	v_add_co_ci_u32_e32 v1, vcc_lo, 0, v9, vcc_lo
	v_add_co_u32 v16, vcc_lo, 0x2eb0, v8
	v_add_co_ci_u32_e32 v17, vcc_lo, 0, v9, vcc_lo
	global_load_b128 v[10:13], v[0:1], off offset:3760
	ds_load_b128 v[0:3], v48 offset:14000
	global_load_b128 v[18:21], v[16:17], off offset:16
	v_add_f64 v[86:87], v[28:29], -v[42:43]
	s_waitcnt vmcnt(1) lgkmcnt(0)
	v_mul_f64 v[4:5], v[2:3], v[12:13]
	scratch_store_b128 off, v[10:13], off offset:1700 ; 16-byte Folded Spill
	s_waitcnt vmcnt(0)
	scratch_store_b128 off, v[18:21], off offset:1716 ; 16-byte Folded Spill
	v_fma_f64 v[6:7], v[0:1], v[10:11], -v[4:5]
	v_mul_f64 v[0:1], v[0:1], v[12:13]
	s_delay_alu instid0(VALU_DEP_1) | instskip(SKIP_3) | instid1(VALU_DEP_1)
	v_fma_f64 v[4:5], v[2:3], v[10:11], v[0:1]
	ds_load_b128 v[0:3], v48 offset:26000
	s_waitcnt lgkmcnt(0)
	v_mul_f64 v[8:9], v[2:3], v[20:21]
	v_fma_f64 v[12:13], v[0:1], v[18:19], -v[8:9]
	v_mul_f64 v[0:1], v[0:1], v[20:21]
	s_delay_alu instid0(VALU_DEP_1)
	v_fma_f64 v[8:9], v[2:3], v[18:19], v[0:1]
	global_load_b128 v[18:21], v[16:17], off offset:32
	ds_load_b128 v[0:3], v48 offset:38000
	s_waitcnt vmcnt(0) lgkmcnt(0)
	v_mul_f64 v[10:11], v[2:3], v[20:21]
	scratch_store_b128 off, v[18:21], off offset:1684 ; 16-byte Folded Spill
	v_fma_f64 v[14:15], v[0:1], v[18:19], -v[10:11]
	v_mul_f64 v[0:1], v[0:1], v[20:21]
	s_delay_alu instid0(VALU_DEP_1)
	v_fma_f64 v[10:11], v[2:3], v[18:19], v[0:1]
	global_load_b128 v[18:21], v[16:17], off offset:48
	ds_load_b128 v[0:3], v48 offset:50000
	s_waitcnt vmcnt(0) lgkmcnt(0)
	v_mul_f64 v[16:17], v[2:3], v[20:21]
	scratch_store_b128 off, v[18:21], off offset:1732 ; 16-byte Folded Spill
	v_fma_f64 v[16:17], v[0:1], v[18:19], -v[16:17]
	v_mul_f64 v[0:1], v[0:1], v[20:21]
	s_delay_alu instid0(VALU_DEP_1) | instskip(SKIP_1) | instid1(VALU_DEP_1)
	v_fma_f64 v[18:19], v[2:3], v[18:19], v[0:1]
	v_lshlrev_b32_e32 v0, 6, v154
	v_add_co_u32 v22, s28, s10, v0
	s_delay_alu instid0(VALU_DEP_1) | instskip(NEXT) | instid1(VALU_DEP_2)
	v_add_co_ci_u32_e64 v23, null, s11, 0, s28
	v_add_co_u32 v0, vcc_lo, 0x2000, v22
	s_delay_alu instid0(VALU_DEP_2)
	v_add_co_ci_u32_e32 v1, vcc_lo, 0, v23, vcc_lo
	global_load_b128 v[50:53], v[0:1], off offset:3760
	ds_load_b128 v[0:3], v48 offset:16000
	s_waitcnt vmcnt(0) lgkmcnt(0)
	v_mul_f64 v[20:21], v[2:3], v[52:53]
	scratch_store_b128 off, v[50:53], off offset:1764 ; 16-byte Folded Spill
	v_fma_f64 v[46:47], v[0:1], v[50:51], -v[20:21]
	v_mul_f64 v[0:1], v[0:1], v[52:53]
	s_delay_alu instid0(VALU_DEP_1)
	v_fma_f64 v[2:3], v[2:3], v[50:51], v[0:1]
	v_add_co_u32 v0, vcc_lo, 0x2eb0, v22
	v_add_co_ci_u32_e32 v1, vcc_lo, 0, v23, vcc_lo
	ds_load_b128 v[20:23], v48 offset:28000
	global_load_b128 v[50:53], v[0:1], off offset:16
	s_waitcnt vmcnt(0) lgkmcnt(0)
	v_mul_f64 v[24:25], v[22:23], v[52:53]
	scratch_store_b128 off, v[50:53], off offset:1796 ; 16-byte Folded Spill
	v_fma_f64 v[146:147], v[20:21], v[50:51], -v[24:25]
	v_mul_f64 v[20:21], v[20:21], v[52:53]
	s_delay_alu instid0(VALU_DEP_1)
	v_fma_f64 v[126:127], v[22:23], v[50:51], v[20:21]
	global_load_b128 v[50:53], v[0:1], off offset:32
	ds_load_b128 v[20:23], v48 offset:40000
	s_waitcnt vmcnt(0) lgkmcnt(0)
	v_mul_f64 v[24:25], v[22:23], v[52:53]
	scratch_store_b128 off, v[50:53], off offset:1780 ; 16-byte Folded Spill
	v_fma_f64 v[136:137], v[20:21], v[50:51], -v[24:25]
	v_mul_f64 v[20:21], v[20:21], v[52:53]
	s_delay_alu instid0(VALU_DEP_1)
	v_fma_f64 v[132:133], v[22:23], v[50:51], v[20:21]
	global_load_b128 v[50:53], v[0:1], off offset:48
	ds_load_b128 v[20:23], v48 offset:52000
	s_waitcnt vmcnt(0) lgkmcnt(0)
	v_mul_f64 v[0:1], v[22:23], v[52:53]
	scratch_store_b128 off, v[50:53], off offset:1748 ; 16-byte Folded Spill
	v_fma_f64 v[0:1], v[20:21], v[50:51], -v[0:1]
	v_mul_f64 v[20:21], v[20:21], v[52:53]
	s_delay_alu instid0(VALU_DEP_1) | instskip(SKIP_1) | instid1(VALU_DEP_1)
	v_fma_f64 v[44:45], v[22:23], v[50:51], v[20:21]
	v_lshlrev_b32_e32 v20, 6, v124
	v_add_co_u32 v30, s28, s10, v20
	s_delay_alu instid0(VALU_DEP_1) | instskip(NEXT) | instid1(VALU_DEP_2)
	v_add_co_ci_u32_e64 v31, null, s11, 0, s28
	v_add_co_u32 v20, vcc_lo, 0x2000, v30
	s_delay_alu instid0(VALU_DEP_2)
	v_add_co_ci_u32_e32 v21, vcc_lo, 0, v31, vcc_lo
	global_load_b128 v[50:53], v[20:21], off offset:3760
	ds_load_b128 v[20:23], v48 offset:18000
	s_waitcnt vmcnt(0) lgkmcnt(0)
	v_mul_f64 v[24:25], v[22:23], v[52:53]
	scratch_store_b128 off, v[50:53], off offset:1820 ; 16-byte Folded Spill
	v_fma_f64 v[118:119], v[20:21], v[50:51], -v[24:25]
	v_add_co_u32 v24, vcc_lo, 0x2eb0, v30
	v_add_co_ci_u32_e32 v25, vcc_lo, 0, v31, vcc_lo
	v_mul_f64 v[20:21], v[20:21], v[52:53]
	s_clause 0x2
	global_load_b128 v[238:241], v[24:25], off offset:16
	global_load_b128 v[234:237], v[24:25], off offset:32
	;; [unrolled: 1-line block ×3, first 2 shown]
	v_fma_f64 v[112:113], v[22:23], v[50:51], v[20:21]
	ds_load_b128 v[20:23], v48 offset:30000
	s_waitcnt vmcnt(2) lgkmcnt(0)
	v_mul_f64 v[30:31], v[22:23], v[240:241]
	s_delay_alu instid0(VALU_DEP_1) | instskip(SKIP_1) | instid1(VALU_DEP_2)
	v_fma_f64 v[148:149], v[20:21], v[238:239], -v[30:31]
	v_mul_f64 v[20:21], v[20:21], v[240:241]
	v_add_f64 v[124:125], v[148:149], -v[118:119]
	s_delay_alu instid0(VALU_DEP_2) | instskip(SKIP_3) | instid1(VALU_DEP_1)
	v_fma_f64 v[120:121], v[22:23], v[238:239], v[20:21]
	ds_load_b128 v[20:23], v48 offset:42000
	s_waitcnt vmcnt(1) lgkmcnt(0)
	v_mul_f64 v[30:31], v[22:23], v[236:237]
	v_fma_f64 v[150:151], v[20:21], v[234:235], -v[30:31]
	v_mul_f64 v[20:21], v[20:21], v[236:237]
	s_delay_alu instid0(VALU_DEP_2) | instskip(NEXT) | instid1(VALU_DEP_2)
	v_add_f64 v[114:115], v[148:149], -v[150:151]
	v_fma_f64 v[134:135], v[22:23], v[234:235], v[20:21]
	ds_load_b128 v[20:23], v48 offset:54000
	s_waitcnt vmcnt(0) lgkmcnt(0)
	v_mul_f64 v[24:25], v[22:23], v[232:233]
	s_delay_alu instid0(VALU_DEP_1) | instskip(SKIP_1) | instid1(VALU_DEP_2)
	v_fma_f64 v[216:217], v[20:21], v[230:231], -v[24:25]
	v_mul_f64 v[20:21], v[20:21], v[232:233]
	v_add_f64 v[110:111], v[118:119], -v[216:217]
	s_delay_alu instid0(VALU_DEP_2) | instskip(SKIP_1) | instid1(VALU_DEP_1)
	v_fma_f64 v[254:255], v[22:23], v[230:231], v[20:21]
	v_lshlrev_b32_e32 v20, 6, v200
	v_add_co_u32 v30, s28, s10, v20
	s_delay_alu instid0(VALU_DEP_1) | instskip(NEXT) | instid1(VALU_DEP_2)
	v_add_co_ci_u32_e64 v31, null, s11, 0, s28
	v_add_co_u32 v20, vcc_lo, 0x2000, v30
	s_delay_alu instid0(VALU_DEP_2) | instskip(SKIP_4) | instid1(VALU_DEP_1)
	v_add_co_ci_u32_e32 v21, vcc_lo, 0, v31, vcc_lo
	global_load_b128 v[226:229], v[20:21], off offset:3760
	ds_load_b128 v[20:23], v48 offset:20000
	s_waitcnt vmcnt(0) lgkmcnt(0)
	v_mul_f64 v[24:25], v[22:23], v[228:229]
	v_fma_f64 v[66:67], v[20:21], v[226:227], -v[24:25]
	v_add_co_u32 v24, vcc_lo, 0x2eb0, v30
	v_add_co_ci_u32_e32 v25, vcc_lo, 0, v31, vcc_lo
	v_mul_f64 v[20:21], v[20:21], v[228:229]
	s_clause 0x2
	global_load_b128 v[168:171], v[24:25], off offset:32
	global_load_b128 v[164:167], v[24:25], off offset:16
	;; [unrolled: 1-line block ×3, first 2 shown]
	v_fma_f64 v[64:65], v[22:23], v[226:227], v[20:21]
	ds_load_b128 v[20:23], v48 offset:32000
	s_waitcnt vmcnt(1) lgkmcnt(0)
	v_mul_f64 v[30:31], v[22:23], v[166:167]
	s_delay_alu instid0(VALU_DEP_1) | instskip(SKIP_1) | instid1(VALU_DEP_2)
	v_fma_f64 v[74:75], v[20:21], v[164:165], -v[30:31]
	v_mul_f64 v[20:21], v[20:21], v[166:167]
	v_add_f64 v[130:131], v[74:75], -v[66:67]
	s_delay_alu instid0(VALU_DEP_2) | instskip(SKIP_3) | instid1(VALU_DEP_1)
	v_fma_f64 v[68:69], v[22:23], v[164:165], v[20:21]
	ds_load_b128 v[20:23], v48 offset:44000
	s_waitcnt lgkmcnt(0)
	v_mul_f64 v[30:31], v[22:23], v[170:171]
	v_fma_f64 v[72:73], v[20:21], v[168:169], -v[30:31]
	v_mul_f64 v[20:21], v[20:21], v[170:171]
	s_delay_alu instid0(VALU_DEP_1) | instskip(SKIP_3) | instid1(VALU_DEP_1)
	v_fma_f64 v[70:71], v[22:23], v[168:169], v[20:21]
	ds_load_b128 v[20:23], v48 offset:56000
	s_waitcnt vmcnt(0) lgkmcnt(0)
	v_mul_f64 v[24:25], v[22:23], v[224:225]
	v_fma_f64 v[76:77], v[20:21], v[222:223], -v[24:25]
	v_mul_f64 v[20:21], v[20:21], v[224:225]
	s_delay_alu instid0(VALU_DEP_1) | instskip(SKIP_3) | instid1(VALU_DEP_1)
	v_fma_f64 v[78:79], v[22:23], v[222:223], v[20:21]
	v_lshlrev_b32_e32 v20, 6, v203
	ds_load_b128 v[200:203], v48 offset:6000
	v_add_co_u32 v50, s10, s10, v20
	v_add_co_ci_u32_e64 v51, null, s11, 0, s10
	s_delay_alu instid0(VALU_DEP_2) | instskip(NEXT) | instid1(VALU_DEP_2)
	v_add_co_u32 v20, vcc_lo, 0x2000, v50
	v_add_co_ci_u32_e32 v21, vcc_lo, 0, v51, vcc_lo
	v_add_co_u32 v50, vcc_lo, 0x2eb0, v50
	v_add_co_ci_u32_e32 v51, vcc_lo, 0, v51, vcc_lo
	global_load_b128 v[218:221], v[20:21], off offset:3760
	ds_load_b128 v[20:23], v48 offset:22000
	s_clause 0x2
	global_load_b128 v[156:159], v[50:51], off offset:16
	global_load_b128 v[160:163], v[50:51], off offset:32
	;; [unrolled: 1-line block ×3, first 2 shown]
	s_waitcnt lgkmcnt(1)
	v_add_f64 v[116:117], v[200:201], v[118:119]
	v_add_f64 v[122:123], v[202:203], v[112:113]
	s_delay_alu instid0(VALU_DEP_2) | instskip(NEXT) | instid1(VALU_DEP_1)
	v_add_f64 v[116:117], v[116:117], v[148:149]
	v_add_f64 v[116:117], v[116:117], v[150:151]
	s_waitcnt vmcnt(3) lgkmcnt(0)
	v_mul_f64 v[24:25], v[22:23], v[220:221]
	s_delay_alu instid0(VALU_DEP_1) | instskip(SKIP_1) | instid1(VALU_DEP_1)
	v_fma_f64 v[30:31], v[20:21], v[218:219], -v[24:25]
	v_mul_f64 v[20:21], v[20:21], v[220:221]
	v_fma_f64 v[80:81], v[22:23], v[218:219], v[20:21]
	ds_load_b128 v[22:25], v48 offset:34000
	s_waitcnt vmcnt(2) lgkmcnt(0)
	v_mul_f64 v[20:21], v[24:25], v[158:159]
	s_delay_alu instid0(VALU_DEP_1) | instskip(SKIP_1) | instid1(VALU_DEP_1)
	v_fma_f64 v[20:21], v[22:23], v[156:157], -v[20:21]
	v_mul_f64 v[22:23], v[22:23], v[158:159]
	v_fma_f64 v[54:55], v[24:25], v[156:157], v[22:23]
	ds_load_b128 v[22:25], v48 offset:46000
	;; [unrolled: 7-line block ×3, first 2 shown]
	s_waitcnt vmcnt(0) lgkmcnt(0)
	v_mul_f64 v[50:51], v[24:25], v[244:245]
	s_delay_alu instid0(VALU_DEP_1) | instskip(SKIP_1) | instid1(VALU_DEP_1)
	v_fma_f64 v[60:61], v[22:23], v[242:243], -v[50:51]
	v_mul_f64 v[22:23], v[22:23], v[244:245]
	v_fma_f64 v[62:63], v[24:25], v[242:243], v[22:23]
	v_add_f64 v[22:23], v[26:27], -v[32:33]
	v_add_f64 v[24:25], v[40:41], -v[36:37]
	s_delay_alu instid0(VALU_DEP_1) | instskip(SKIP_2) | instid1(VALU_DEP_1)
	v_add_f64 v[50:51], v[22:23], v[24:25]
	v_add_f64 v[22:23], v[28:29], -v[34:35]
	v_add_f64 v[24:25], v[42:43], -v[38:39]
	v_add_f64 v[52:53], v[22:23], v[24:25]
	ds_load_b128 v[22:25], v48
	s_waitcnt lgkmcnt(0)
	v_fma_f64 v[82:83], v[82:83], -0.5, v[22:23]
	v_fma_f64 v[84:85], v[84:85], -0.5, v[24:25]
	s_delay_alu instid0(VALU_DEP_2) | instskip(NEXT) | instid1(VALU_DEP_2)
	v_fma_f64 v[90:91], v[86:87], s[12:13], v[82:83]
	v_fma_f64 v[96:97], v[92:93], s[14:15], v[84:85]
	;; [unrolled: 1-line block ×4, first 2 shown]
	s_delay_alu instid0(VALU_DEP_4) | instskip(NEXT) | instid1(VALU_DEP_4)
	v_fma_f64 v[90:91], v[88:89], s[2:3], v[90:91]
	v_fma_f64 v[96:97], v[94:95], s[8:9], v[96:97]
	s_delay_alu instid0(VALU_DEP_4) | instskip(NEXT) | instid1(VALU_DEP_4)
	v_fma_f64 v[82:83], v[88:89], s[8:9], v[82:83]
	v_fma_f64 v[84:85], v[94:95], s[2:3], v[84:85]
	;; [unrolled: 3-line block ×4, first 2 shown]
	v_add_f64 v[50:51], v[26:27], v[40:41]
	v_add_f64 v[52:53], v[28:29], v[42:43]
	s_delay_alu instid0(VALU_DEP_2) | instskip(NEXT) | instid1(VALU_DEP_2)
	v_fma_f64 v[50:51], v[50:51], -0.5, v[22:23]
	v_fma_f64 v[52:53], v[52:53], -0.5, v[24:25]
	v_add_f64 v[22:23], v[22:23], v[26:27]
	v_add_f64 v[24:25], v[24:25], v[28:29]
	v_add_f64 v[26:27], v[32:33], -v[26:27]
	v_add_f64 v[28:29], v[34:35], -v[28:29]
	s_delay_alu instid0(VALU_DEP_4) | instskip(NEXT) | instid1(VALU_DEP_4)
	v_add_f64 v[22:23], v[22:23], v[32:33]
	v_add_f64 v[24:25], v[24:25], v[34:35]
	v_add_f64 v[32:33], v[36:37], -v[40:41]
	v_fma_f64 v[34:35], v[88:89], s[12:13], v[50:51]
	s_delay_alu instid0(VALU_DEP_4) | instskip(NEXT) | instid1(VALU_DEP_4)
	v_add_f64 v[22:23], v[22:23], v[36:37]
	v_add_f64 v[24:25], v[24:25], v[38:39]
	v_fma_f64 v[36:37], v[94:95], s[12:13], v[52:53]
	v_add_f64 v[26:27], v[26:27], v[32:33]
	s_delay_alu instid0(VALU_DEP_4) | instskip(NEXT) | instid1(VALU_DEP_4)
	v_add_f64 v[82:83], v[22:23], v[40:41]
	v_add_f64 v[84:85], v[24:25], v[42:43]
	v_add_f64 v[22:23], v[38:39], -v[42:43]
	v_fma_f64 v[24:25], v[88:89], s[14:15], v[50:51]
	v_fma_f64 v[38:39], v[94:95], s[14:15], v[52:53]
	;; [unrolled: 1-line block ×3, first 2 shown]
	v_add_f64 v[36:37], v[4:5], -v[18:19]
	v_add_f64 v[42:43], v[6:7], -v[16:17]
	;; [unrolled: 1-line block ×3, first 2 shown]
	v_add_f64 v[22:23], v[28:29], v[22:23]
	v_fma_f64 v[24:25], v[86:87], s[2:3], v[24:25]
	v_fma_f64 v[28:29], v[86:87], s[8:9], v[34:35]
	;; [unrolled: 1-line block ×3, first 2 shown]
	v_add_f64 v[38:39], v[8:9], -v[10:11]
	v_fma_f64 v[100:101], v[22:23], s[16:17], v[32:33]
	v_fma_f64 v[98:99], v[26:27], s[16:17], v[24:25]
	v_add_f64 v[24:25], v[16:17], -v[14:15]
	v_fma_f64 v[96:97], v[22:23], s[16:17], v[34:35]
	v_add_f64 v[22:23], v[6:7], -v[12:13]
	v_fma_f64 v[94:95], v[26:27], s[16:17], v[28:29]
	v_add_f64 v[32:33], v[12:13], v[14:15]
	v_add_f64 v[34:35], v[8:9], v[10:11]
	s_delay_alu instid0(VALU_DEP_4) | instskip(SKIP_2) | instid1(VALU_DEP_1)
	v_add_f64 v[26:27], v[22:23], v[24:25]
	v_add_f64 v[22:23], v[4:5], -v[8:9]
	v_add_f64 v[24:25], v[18:19], -v[10:11]
	v_add_f64 v[28:29], v[22:23], v[24:25]
	ds_load_b128 v[22:25], v48 offset:2000
	s_waitcnt lgkmcnt(0)
	v_fma_f64 v[32:33], v[32:33], -0.5, v[22:23]
	v_fma_f64 v[34:35], v[34:35], -0.5, v[24:25]
	s_delay_alu instid0(VALU_DEP_2) | instskip(NEXT) | instid1(VALU_DEP_2)
	v_fma_f64 v[40:41], v[36:37], s[12:13], v[32:33]
	v_fma_f64 v[52:53], v[42:43], s[14:15], v[34:35]
	;; [unrolled: 1-line block ×4, first 2 shown]
	s_delay_alu instid0(VALU_DEP_4) | instskip(NEXT) | instid1(VALU_DEP_4)
	v_fma_f64 v[40:41], v[38:39], s[2:3], v[40:41]
	v_fma_f64 v[52:53], v[50:51], s[8:9], v[52:53]
	s_delay_alu instid0(VALU_DEP_4) | instskip(NEXT) | instid1(VALU_DEP_4)
	v_fma_f64 v[32:33], v[38:39], s[8:9], v[32:33]
	v_fma_f64 v[34:35], v[50:51], s[2:3], v[34:35]
	;; [unrolled: 3-line block ×4, first 2 shown]
	v_add_f64 v[26:27], v[6:7], v[16:17]
	v_add_f64 v[28:29], v[4:5], v[18:19]
	v_add_f64 v[32:33], v[12:13], -v[6:7]
	v_add_f64 v[34:35], v[126:127], -v[132:133]
	s_delay_alu instid0(VALU_DEP_4) | instskip(NEXT) | instid1(VALU_DEP_4)
	v_fma_f64 v[26:27], v[26:27], -0.5, v[22:23]
	v_fma_f64 v[28:29], v[28:29], -0.5, v[24:25]
	v_add_f64 v[22:23], v[22:23], v[6:7]
	v_add_f64 v[24:25], v[24:25], v[4:5]
	s_delay_alu instid0(VALU_DEP_2) | instskip(NEXT) | instid1(VALU_DEP_2)
	v_add_f64 v[6:7], v[22:23], v[12:13]
	v_add_f64 v[12:13], v[24:25], v[8:9]
	v_add_f64 v[8:9], v[8:9], -v[4:5]
	v_fma_f64 v[22:23], v[50:51], s[14:15], v[28:29]
	s_delay_alu instid0(VALU_DEP_4) | instskip(NEXT) | instid1(VALU_DEP_4)
	v_add_f64 v[4:5], v[6:7], v[14:15]
	v_add_f64 v[6:7], v[12:13], v[10:11]
	v_add_f64 v[12:13], v[14:15], -v[16:17]
	v_add_f64 v[10:11], v[10:11], -v[18:19]
	v_fma_f64 v[14:15], v[38:39], s[14:15], v[26:27]
	v_add_f64 v[4:5], v[4:5], v[16:17]
	v_add_f64 v[6:7], v[6:7], v[18:19]
	v_fma_f64 v[16:17], v[38:39], s[12:13], v[26:27]
	v_fma_f64 v[18:19], v[50:51], s[12:13], v[28:29]
	v_add_f64 v[12:13], v[32:33], v[12:13]
	v_add_f64 v[8:9], v[8:9], v[10:11]
	v_fma_f64 v[10:11], v[36:37], s[2:3], v[14:15]
	ds_load_b128 v[50:53], v48 offset:4000
	v_add_f64 v[32:33], v[2:3], -v[44:45]
	v_add_f64 v[38:39], v[146:147], -v[136:137]
	s_waitcnt lgkmcnt(0)
	v_add_f64 v[40:41], v[50:51], v[46:47]
	v_fma_f64 v[14:15], v[36:37], s[8:9], v[16:17]
	v_fma_f64 v[16:17], v[42:43], s[8:9], v[18:19]
	v_fma_f64 v[18:19], v[42:43], s[2:3], v[22:23]
	v_add_f64 v[36:37], v[46:47], -v[0:1]
	v_fma_f64 v[22:23], v[12:13], s[16:17], v[10:11]
	v_add_f64 v[10:11], v[0:1], -v[136:137]
	v_add_f64 v[42:43], v[52:53], v[2:3]
	v_add_f64 v[40:41], v[40:41], v[146:147]
	v_fma_f64 v[24:25], v[8:9], s[16:17], v[16:17]
	v_fma_f64 v[18:19], v[8:9], s[16:17], v[18:19]
	v_add_f64 v[8:9], v[46:47], -v[146:147]
	v_fma_f64 v[16:17], v[12:13], s[16:17], v[14:15]
	v_add_f64 v[12:13], v[44:45], -v[132:133]
	v_add_f64 v[42:43], v[42:43], v[126:127]
	s_delay_alu instid0(VALU_DEP_4) | instskip(SKIP_1) | instid1(VALU_DEP_1)
	v_add_f64 v[8:9], v[8:9], v[10:11]
	v_add_f64 v[10:11], v[2:3], -v[126:127]
	v_add_f64 v[10:11], v[10:11], v[12:13]
	v_add_f64 v[12:13], v[146:147], v[136:137]
	s_delay_alu instid0(VALU_DEP_1) | instskip(SKIP_1) | instid1(VALU_DEP_1)
	v_fma_f64 v[26:27], v[12:13], -0.5, v[50:51]
	v_add_f64 v[12:13], v[126:127], v[132:133]
	v_fma_f64 v[28:29], v[12:13], -0.5, v[52:53]
	s_delay_alu instid0(VALU_DEP_3) | instskip(SKIP_1) | instid1(VALU_DEP_3)
	v_fma_f64 v[12:13], v[32:33], s[12:13], v[26:27]
	v_fma_f64 v[26:27], v[32:33], s[14:15], v[26:27]
	;; [unrolled: 1-line block ×4, first 2 shown]
	s_delay_alu instid0(VALU_DEP_4) | instskip(NEXT) | instid1(VALU_DEP_4)
	v_fma_f64 v[12:13], v[34:35], s[2:3], v[12:13]
	v_fma_f64 v[26:27], v[34:35], s[8:9], v[26:27]
	s_delay_alu instid0(VALU_DEP_4) | instskip(NEXT) | instid1(VALU_DEP_4)
	v_fma_f64 v[14:15], v[38:39], s[8:9], v[14:15]
	v_fma_f64 v[28:29], v[38:39], s[2:3], v[28:29]
	;; [unrolled: 3-line block ×3, first 2 shown]
	v_add_f64 v[26:27], v[46:47], v[0:1]
	v_add_f64 v[46:47], v[146:147], -v[46:47]
	v_fma_f64 v[14:15], v[10:11], s[16:17], v[14:15]
	v_fma_f64 v[10:11], v[10:11], s[16:17], v[28:29]
	v_add_f64 v[28:29], v[2:3], v[44:45]
	v_fma_f64 v[26:27], v[26:27], -0.5, v[50:51]
	v_add_f64 v[50:51], v[126:127], -v[2:3]
	v_add_f64 v[2:3], v[40:41], v[136:137]
	v_add_f64 v[40:41], v[42:43], v[132:133]
	v_add_f64 v[42:43], v[136:137], -v[0:1]
	v_add_f64 v[136:137], v[30:31], -v[60:61]
	v_fma_f64 v[28:29], v[28:29], -0.5, v[52:53]
	v_add_f64 v[0:1], v[2:3], v[0:1]
	v_add_f64 v[2:3], v[40:41], v[44:45]
	v_add_f64 v[40:41], v[132:133], -v[44:45]
	v_fma_f64 v[44:45], v[34:35], s[14:15], v[26:27]
	v_fma_f64 v[26:27], v[34:35], s[12:13], v[26:27]
	;; [unrolled: 1-line block ×4, first 2 shown]
	v_add_f64 v[38:39], v[46:47], v[42:43]
	v_add_f64 v[40:41], v[50:51], v[40:41]
	v_fma_f64 v[42:43], v[32:33], s[2:3], v[44:45]
	v_fma_f64 v[26:27], v[32:33], s[8:9], v[26:27]
	;; [unrolled: 1-line block ×4, first 2 shown]
	v_add_f64 v[34:35], v[120:121], v[134:135]
	v_add_f64 v[36:37], v[112:113], -v[254:255]
	v_fma_f64 v[44:45], v[38:39], s[16:17], v[42:43]
	v_fma_f64 v[50:51], v[38:39], s[16:17], v[26:27]
	v_add_f64 v[26:27], v[118:119], -v[148:149]
	v_add_f64 v[38:39], v[120:121], -v[134:135]
	v_fma_f64 v[46:47], v[40:41], s[16:17], v[32:33]
	v_fma_f64 v[52:53], v[40:41], s[16:17], v[28:29]
	v_add_f64 v[28:29], v[216:217], -v[150:151]
	v_add_f64 v[32:33], v[254:255], -v[134:135]
	v_fma_f64 v[34:35], v[34:35], -0.5, v[202:203]
	s_delay_alu instid0(VALU_DEP_3) | instskip(SKIP_1) | instid1(VALU_DEP_3)
	v_add_f64 v[26:27], v[26:27], v[28:29]
	v_add_f64 v[28:29], v[112:113], -v[120:121]
	v_fma_f64 v[42:43], v[110:111], s[14:15], v[34:35]
	v_fma_f64 v[34:35], v[110:111], s[12:13], v[34:35]
	s_delay_alu instid0(VALU_DEP_3) | instskip(SKIP_1) | instid1(VALU_DEP_4)
	v_add_f64 v[28:29], v[28:29], v[32:33]
	v_add_f64 v[32:33], v[148:149], v[150:151]
	v_fma_f64 v[42:43], v[114:115], s[8:9], v[42:43]
	s_delay_alu instid0(VALU_DEP_4) | instskip(NEXT) | instid1(VALU_DEP_3)
	v_fma_f64 v[34:35], v[114:115], s[2:3], v[34:35]
	v_fma_f64 v[32:33], v[32:33], -0.5, v[200:201]
	s_delay_alu instid0(VALU_DEP_3) | instskip(NEXT) | instid1(VALU_DEP_3)
	v_fma_f64 v[42:43], v[28:29], s[16:17], v[42:43]
	v_fma_f64 v[28:29], v[28:29], s[16:17], v[34:35]
	v_add_f64 v[34:35], v[112:113], v[254:255]
	v_add_f64 v[112:113], v[120:121], -v[112:113]
	v_fma_f64 v[40:41], v[36:37], s[12:13], v[32:33]
	v_fma_f64 v[32:33], v[36:37], s[14:15], v[32:33]
	s_delay_alu instid0(VALU_DEP_4) | instskip(NEXT) | instid1(VALU_DEP_3)
	v_fma_f64 v[34:35], v[34:35], -0.5, v[202:203]
	v_fma_f64 v[40:41], v[38:39], s[2:3], v[40:41]
	s_delay_alu instid0(VALU_DEP_3) | instskip(NEXT) | instid1(VALU_DEP_2)
	v_fma_f64 v[32:33], v[38:39], s[8:9], v[32:33]
	v_fma_f64 v[40:41], v[26:27], s[16:17], v[40:41]
	s_delay_alu instid0(VALU_DEP_2) | instskip(SKIP_3) | instid1(VALU_DEP_3)
	v_fma_f64 v[26:27], v[26:27], s[16:17], v[32:33]
	v_add_f64 v[32:33], v[118:119], v[216:217]
	v_add_f64 v[118:119], v[122:123], v[120:121]
	v_add_f64 v[122:123], v[150:151], -v[216:217]
	v_fma_f64 v[32:33], v[32:33], -0.5, v[200:201]
	s_delay_alu instid0(VALU_DEP_3)
	v_add_f64 v[120:121], v[118:119], v[134:135]
	v_add_f64 v[118:119], v[116:117], v[216:217]
	v_add_f64 v[116:117], v[134:135], -v[254:255]
	ds_load_b128 v[200:203], v48 offset:8000
	s_waitcnt lgkmcnt(0)
	v_add_f64 v[128:129], v[202:203], v[64:65]
	v_fma_f64 v[126:127], v[38:39], s[14:15], v[32:33]
	v_fma_f64 v[32:33], v[38:39], s[12:13], v[32:33]
	;; [unrolled: 1-line block ×4, first 2 shown]
	v_add_f64 v[114:115], v[124:125], v[122:123]
	v_add_f64 v[112:113], v[112:113], v[116:117]
	v_add_f64 v[122:123], v[66:67], -v[76:77]
	v_add_f64 v[124:125], v[74:75], -v[72:73]
	v_add_f64 v[120:121], v[120:121], v[254:255]
	v_fma_f64 v[116:117], v[36:37], s[2:3], v[126:127]
	v_fma_f64 v[32:33], v[36:37], s[8:9], v[32:33]
	v_fma_f64 v[36:37], v[110:111], s[8:9], v[38:39]
	v_fma_f64 v[34:35], v[110:111], s[2:3], v[34:35]
	v_add_f64 v[126:127], v[200:201], v[66:67]
	v_fma_f64 v[132:133], v[114:115], s[16:17], v[116:117]
	v_fma_f64 v[146:147], v[114:115], s[16:17], v[32:33]
	v_add_f64 v[32:33], v[66:67], -v[74:75]
	v_fma_f64 v[148:149], v[112:113], s[16:17], v[34:35]
	v_add_f64 v[34:35], v[76:77], -v[72:73]
	;; [unrolled: 2-line block ×3, first 2 shown]
	v_add_f64 v[114:115], v[64:65], -v[78:79]
	v_add_f64 v[116:117], v[68:69], -v[70:71]
	v_add_f64 v[32:33], v[32:33], v[34:35]
	v_add_f64 v[34:35], v[64:65], -v[68:69]
	s_delay_alu instid0(VALU_DEP_1) | instskip(SKIP_1) | instid1(VALU_DEP_1)
	v_add_f64 v[34:35], v[34:35], v[36:37]
	v_add_f64 v[36:37], v[74:75], v[72:73]
	v_fma_f64 v[110:111], v[36:37], -0.5, v[200:201]
	v_add_f64 v[36:37], v[68:69], v[70:71]
	s_delay_alu instid0(VALU_DEP_1) | instskip(NEXT) | instid1(VALU_DEP_3)
	v_fma_f64 v[112:113], v[36:37], -0.5, v[202:203]
	v_fma_f64 v[36:37], v[114:115], s[12:13], v[110:111]
	v_fma_f64 v[110:111], v[114:115], s[14:15], v[110:111]
	s_delay_alu instid0(VALU_DEP_3) | instskip(SKIP_1) | instid1(VALU_DEP_4)
	v_fma_f64 v[38:39], v[122:123], s[14:15], v[112:113]
	v_fma_f64 v[112:113], v[122:123], s[12:13], v[112:113]
	;; [unrolled: 1-line block ×3, first 2 shown]
	s_delay_alu instid0(VALU_DEP_4) | instskip(NEXT) | instid1(VALU_DEP_4)
	v_fma_f64 v[110:111], v[116:117], s[8:9], v[110:111]
	v_fma_f64 v[38:39], v[124:125], s[8:9], v[38:39]
	s_delay_alu instid0(VALU_DEP_4) | instskip(NEXT) | instid1(VALU_DEP_4)
	v_fma_f64 v[112:113], v[124:125], s[2:3], v[112:113]
	v_fma_f64 v[36:37], v[32:33], s[16:17], v[36:37]
	s_delay_alu instid0(VALU_DEP_4)
	v_fma_f64 v[32:33], v[32:33], s[16:17], v[110:111]
	v_add_f64 v[110:111], v[66:67], v[76:77]
	v_add_f64 v[66:67], v[126:127], v[74:75]
	;; [unrolled: 1-line block ×3, first 2 shown]
	v_add_f64 v[68:69], v[68:69], -v[64:65]
	v_add_f64 v[126:127], v[54:55], -v[56:57]
	;; [unrolled: 1-line block ×3, first 2 shown]
	v_fma_f64 v[38:39], v[34:35], s[16:17], v[38:39]
	v_fma_f64 v[34:35], v[34:35], s[16:17], v[112:113]
	v_add_f64 v[112:113], v[64:65], v[78:79]
	v_fma_f64 v[110:111], v[110:111], -0.5, v[200:201]
	v_add_f64 v[64:65], v[66:67], v[72:73]
	v_add_f64 v[66:67], v[74:75], v[70:71]
	v_add_f64 v[72:73], v[72:73], -v[76:77]
	v_add_f64 v[70:71], v[70:71], -v[78:79]
	v_fma_f64 v[112:113], v[112:113], -0.5, v[202:203]
	v_fma_f64 v[74:75], v[116:117], s[14:15], v[110:111]
	v_add_f64 v[64:65], v[64:65], v[76:77]
	v_fma_f64 v[76:77], v[116:117], s[12:13], v[110:111]
	v_add_f64 v[66:67], v[66:67], v[78:79]
	v_add_f64 v[72:73], v[130:131], v[72:73]
	v_add_f64 v[130:131], v[20:21], -v[58:59]
	v_fma_f64 v[110:111], v[124:125], s[14:15], v[112:113]
	v_fma_f64 v[78:79], v[124:125], s[12:13], v[112:113]
	v_add_f64 v[112:113], v[68:69], v[70:71]
	v_fma_f64 v[68:69], v[114:115], s[2:3], v[74:75]
	v_fma_f64 v[74:75], v[114:115], s[8:9], v[76:77]
	;; [unrolled: 1-line block ×4, first 2 shown]
	v_add_f64 v[78:79], v[58:59], -v[60:61]
	v_fma_f64 v[68:69], v[72:73], s[16:17], v[68:69]
	v_fma_f64 v[72:73], v[72:73], s[16:17], v[74:75]
	v_add_f64 v[110:111], v[30:31], v[60:61]
	v_fma_f64 v[74:75], v[112:113], s[16:17], v[76:77]
	v_add_f64 v[76:77], v[20:21], -v[30:31]
	v_fma_f64 v[70:71], v[112:113], s[16:17], v[70:71]
	s_delay_alu instid0(VALU_DEP_2) | instskip(SKIP_2) | instid1(VALU_DEP_1)
	v_add_f64 v[114:115], v[76:77], v[78:79]
	v_add_f64 v[76:77], v[54:55], -v[80:81]
	v_add_f64 v[78:79], v[56:57], -v[62:63]
	v_add_f64 v[116:117], v[76:77], v[78:79]
	ds_load_b128 v[76:79], v48 offset:10000
	s_waitcnt lgkmcnt(0)
	v_fma_f64 v[122:123], v[110:111], -0.5, v[76:77]
	v_add_f64 v[110:111], v[80:81], v[62:63]
	s_delay_alu instid0(VALU_DEP_1) | instskip(NEXT) | instid1(VALU_DEP_3)
	v_fma_f64 v[124:125], v[110:111], -0.5, v[78:79]
	v_fma_f64 v[110:111], v[126:127], s[14:15], v[122:123]
	v_fma_f64 v[122:123], v[126:127], s[12:13], v[122:123]
	s_delay_alu instid0(VALU_DEP_3) | instskip(SKIP_1) | instid1(VALU_DEP_4)
	v_fma_f64 v[112:113], v[130:131], s[12:13], v[124:125]
	v_fma_f64 v[124:125], v[130:131], s[14:15], v[124:125]
	;; [unrolled: 1-line block ×3, first 2 shown]
	s_delay_alu instid0(VALU_DEP_4) | instskip(NEXT) | instid1(VALU_DEP_4)
	v_fma_f64 v[122:123], v[128:129], s[8:9], v[122:123]
	v_fma_f64 v[112:113], v[136:137], s[8:9], v[112:113]
	s_delay_alu instid0(VALU_DEP_4) | instskip(NEXT) | instid1(VALU_DEP_4)
	v_fma_f64 v[124:125], v[136:137], s[2:3], v[124:125]
	v_fma_f64 v[110:111], v[114:115], s[16:17], v[110:111]
	s_delay_alu instid0(VALU_DEP_4) | instskip(SKIP_4) | instid1(VALU_DEP_4)
	v_fma_f64 v[200:201], v[114:115], s[16:17], v[122:123]
	v_add_f64 v[114:115], v[20:21], v[58:59]
	v_fma_f64 v[112:113], v[116:117], s[16:17], v[112:113]
	v_fma_f64 v[202:203], v[116:117], s[16:17], v[124:125]
	v_add_f64 v[116:117], v[54:55], v[56:57]
	v_fma_f64 v[114:115], v[114:115], -0.5, v[76:77]
	v_add_f64 v[76:77], v[76:77], v[30:31]
	v_add_f64 v[30:31], v[30:31], -v[20:21]
	s_delay_alu instid0(VALU_DEP_4) | instskip(SKIP_1) | instid1(VALU_DEP_4)
	v_fma_f64 v[116:117], v[116:117], -0.5, v[78:79]
	v_add_f64 v[78:79], v[78:79], v[80:81]
	v_add_f64 v[20:21], v[76:77], v[20:21]
	s_delay_alu instid0(VALU_DEP_2) | instskip(SKIP_1) | instid1(VALU_DEP_3)
	v_add_f64 v[76:77], v[78:79], v[54:55]
	v_add_f64 v[54:55], v[80:81], -v[54:55]
	v_add_f64 v[20:21], v[20:21], v[58:59]
	v_add_f64 v[78:79], v[60:61], -v[58:59]
	v_fma_f64 v[80:81], v[136:137], s[12:13], v[116:117]
	v_add_f64 v[76:77], v[76:77], v[56:57]
	s_delay_alu instid0(VALU_DEP_4)
	v_add_f64 v[58:59], v[20:21], v[60:61]
	v_add_f64 v[20:21], v[62:63], -v[56:57]
	v_fma_f64 v[56:57], v[128:129], s[12:13], v[114:115]
	v_add_f64 v[30:31], v[30:31], v[78:79]
	v_fma_f64 v[78:79], v[130:131], s[2:3], v[80:81]
	v_add_f64 v[60:61], v[76:77], v[62:63]
	v_fma_f64 v[76:77], v[136:137], s[14:15], v[116:117]
	v_fma_f64 v[62:63], v[128:129], s[14:15], v[114:115]
	v_add_f64 v[20:21], v[54:55], v[20:21]
	v_fma_f64 v[54:55], v[126:127], s[2:3], v[56:57]
	s_delay_alu instid0(VALU_DEP_4) | instskip(NEXT) | instid1(VALU_DEP_4)
	v_fma_f64 v[56:57], v[130:131], s[8:9], v[76:77]
	v_fma_f64 v[62:63], v[126:127], s[8:9], v[62:63]
	s_delay_alu instid0(VALU_DEP_4) | instskip(NEXT) | instid1(VALU_DEP_4)
	v_fma_f64 v[78:79], v[20:21], s[16:17], v[78:79]
	v_fma_f64 v[54:55], v[30:31], s[16:17], v[54:55]
	v_add_co_u32 v130, vcc_lo, 0x13000, v174
	v_add_co_ci_u32_e32 v131, vcc_lo, 0, v49, vcc_lo
	v_fma_f64 v[56:57], v[20:21], s[16:17], v[56:57]
	v_fma_f64 v[76:77], v[30:31], s[16:17], v[62:63]
	ds_store_b128 v48, v[82:85]
	ds_store_b128 v48, v[4:7] offset:2000
	ds_store_b128 v48, v[0:3] offset:4000
	;; [unrolled: 1-line block ×29, first 2 shown]
	s_waitcnt lgkmcnt(0)
	s_waitcnt_vscnt null, 0x0
	s_barrier
	buffer_gl0_inv
	scratch_load_b64 v[0:1], off, off offset:1812 ; 8-byte Folded Reload
	ds_load_b128 v[14:17], v48 offset:40000
	ds_load_b128 v[32:35], v48 offset:42000
	;; [unrolled: 1-line block ×20, first 2 shown]
	s_waitcnt vmcnt(0)
	global_load_b128 v[4:7], v[0:1], off offset:2656
	ds_load_b128 v[0:3], v48
	s_waitcnt vmcnt(0) lgkmcnt(0)
	v_mul_f64 v[8:9], v[2:3], v[6:7]
	v_mul_f64 v[6:7], v[0:1], v[6:7]
	s_delay_alu instid0(VALU_DEP_2) | instskip(NEXT) | instid1(VALU_DEP_2)
	v_fma_f64 v[150:151], v[0:1], v[4:5], -v[8:9]
	v_fma_f64 v[152:153], v[2:3], v[4:5], v[6:7]
	global_load_b128 v[4:7], v[130:131], off offset:2176
	ds_load_b128 v[8:11], v48 offset:20000
	s_waitcnt vmcnt(0) lgkmcnt(0)
	v_mul_f64 v[0:1], v[10:11], v[6:7]
	v_mul_f64 v[2:3], v[8:9], v[6:7]
	s_delay_alu instid0(VALU_DEP_2) | instskip(SKIP_2) | instid1(VALU_DEP_4)
	v_fma_f64 v[140:141], v[8:9], v[4:5], -v[0:1]
	v_add_co_u32 v0, vcc_lo, 0x18000, v174
	v_add_co_ci_u32_e32 v1, vcc_lo, 0, v49, vcc_lo
	v_fma_f64 v[142:143], v[10:11], v[4:5], v[2:3]
	global_load_b128 v[10:13], v[0:1], off offset:1696
	s_waitcnt vmcnt(0)
	v_mul_f64 v[2:3], v[16:17], v[12:13]
	v_mul_f64 v[4:5], v[14:15], v[12:13]
	s_delay_alu instid0(VALU_DEP_2) | instskip(SKIP_2) | instid1(VALU_DEP_4)
	v_fma_f64 v[136:137], v[14:15], v[10:11], -v[2:3]
	v_add_co_u32 v2, vcc_lo, 0xea60, v174
	v_add_co_ci_u32_e32 v3, vcc_lo, 0, v49, vcc_lo
	v_fma_f64 v[138:139], v[16:17], v[10:11], v[4:5]
	global_load_b128 v[16:19], v[2:3], off offset:2000
	s_waitcnt vmcnt(0)
	;; [unrolled: 9-line block ×3, first 2 shown]
	v_mul_f64 v[8:9], v[26:27], v[24:25]
	v_mul_f64 v[6:7], v[28:29], v[24:25]
	s_delay_alu instid0(VALU_DEP_2)
	v_fma_f64 v[124:125], v[28:29], v[22:23], v[8:9]
	global_load_b128 v[28:31], v[0:1], off offset:3696
	v_fma_f64 v[122:123], v[26:27], v[22:23], -v[6:7]
	ds_load_b128 v[20:23], v48 offset:18000
	s_waitcnt vmcnt(0)
	v_mul_f64 v[6:7], v[32:33], v[30:31]
	v_mul_f64 v[0:1], v[34:35], v[30:31]
	s_delay_alu instid0(VALU_DEP_2)
	v_fma_f64 v[116:117], v[34:35], v[28:29], v[6:7]
	global_load_b128 v[34:37], v[2:3], off offset:4000
	v_fma_f64 v[114:115], v[32:33], v[28:29], -v[0:1]
	s_waitcnt vmcnt(0)
	v_mul_f64 v[0:1], v[40:41], v[36:37]
	v_mul_f64 v[2:3], v[38:39], v[36:37]
	s_delay_alu instid0(VALU_DEP_2) | instskip(NEXT) | instid1(VALU_DEP_2)
	v_fma_f64 v[36:37], v[38:39], v[34:35], -v[0:1]
	v_fma_f64 v[38:39], v[40:41], v[34:35], v[2:3]
	global_load_b128 v[40:43], v[4:5], off offset:2080
	s_waitcnt vmcnt(0)
	v_mul_f64 v[0:1], v[46:47], v[42:43]
	v_mul_f64 v[2:3], v[44:45], v[42:43]
	s_delay_alu instid0(VALU_DEP_2) | instskip(SKIP_2) | instid1(VALU_DEP_4)
	v_fma_f64 v[42:43], v[44:45], v[40:41], -v[0:1]
	v_add_co_u32 v0, vcc_lo, 0x19000, v174
	v_add_co_ci_u32_e32 v1, vcc_lo, 0, v49, vcc_lo
	v_fma_f64 v[44:45], v[46:47], v[40:41], v[2:3]
	global_load_b128 v[50:53], v[0:1], off offset:1600
	s_waitcnt vmcnt(0)
	v_mul_f64 v[2:3], v[56:57], v[52:53]
	v_mul_f64 v[6:7], v[54:55], v[52:53]
	s_delay_alu instid0(VALU_DEP_2) | instskip(SKIP_2) | instid1(VALU_DEP_4)
	v_fma_f64 v[52:53], v[54:55], v[50:51], -v[2:3]
	v_add_co_u32 v2, vcc_lo, 0x10000, v174
	v_add_co_ci_u32_e32 v3, vcc_lo, 0, v49, vcc_lo
	v_fma_f64 v[54:55], v[56:57], v[50:51], v[6:7]
	global_load_b128 v[56:59], v[2:3], off offset:464
	s_waitcnt vmcnt(0)
	v_mul_f64 v[6:7], v[62:63], v[58:59]
	v_mul_f64 v[8:9], v[60:61], v[58:59]
	s_delay_alu instid0(VALU_DEP_2) | instskip(NEXT) | instid1(VALU_DEP_2)
	v_fma_f64 v[58:59], v[60:61], v[56:57], -v[6:7]
	v_fma_f64 v[60:61], v[62:63], v[56:57], v[8:9]
	global_load_b128 v[62:65], v[4:5], off offset:4080
	s_waitcnt vmcnt(0)
	v_mul_f64 v[4:5], v[68:69], v[64:65]
	v_mul_f64 v[6:7], v[66:67], v[64:65]
	s_delay_alu instid0(VALU_DEP_2) | instskip(NEXT) | instid1(VALU_DEP_2)
	v_fma_f64 v[64:65], v[66:67], v[62:63], -v[4:5]
	;; [unrolled: 7-line block ×3, first 2 shown]
	v_fma_f64 v[72:73], v[74:75], v[68:69], v[4:5]
	global_load_b128 v[74:77], v[2:3], off offset:2464
	s_waitcnt vmcnt(0)
	v_mul_f64 v[0:1], v[80:81], v[76:77]
	v_mul_f64 v[2:3], v[78:79], v[76:77]
	s_delay_alu instid0(VALU_DEP_2) | instskip(SKIP_2) | instid1(VALU_DEP_4)
	v_fma_f64 v[76:77], v[78:79], v[74:75], -v[0:1]
	v_add_co_u32 v0, vcc_lo, 0x15000, v174
	v_add_co_ci_u32_e32 v1, vcc_lo, 0, v49, vcc_lo
	v_fma_f64 v[78:79], v[80:81], v[74:75], v[2:3]
	global_load_b128 v[80:83], v[0:1], off offset:1984
	s_waitcnt vmcnt(0)
	v_mul_f64 v[2:3], v[86:87], v[82:83]
	v_mul_f64 v[4:5], v[84:85], v[82:83]
	s_delay_alu instid0(VALU_DEP_2) | instskip(SKIP_2) | instid1(VALU_DEP_4)
	v_fma_f64 v[82:83], v[84:85], v[80:81], -v[2:3]
	v_add_co_u32 v2, vcc_lo, 0x1a000, v174
	v_add_co_ci_u32_e32 v3, vcc_lo, 0, v49, vcc_lo
	;; [unrolled: 9-line block ×3, first 2 shown]
	v_fma_f64 v[90:91], v[92:93], v[86:87], v[6:7]
	global_load_b128 v[92:95], v[4:5], off offset:368
	s_waitcnt vmcnt(0)
	v_mul_f64 v[6:7], v[98:99], v[94:95]
	v_mul_f64 v[8:9], v[96:97], v[94:95]
	s_delay_alu instid0(VALU_DEP_2) | instskip(NEXT) | instid1(VALU_DEP_2)
	v_fma_f64 v[94:95], v[96:97], v[92:93], -v[6:7]
	v_fma_f64 v[96:97], v[98:99], v[92:93], v[8:9]
	global_load_b128 v[98:101], v[0:1], off offset:3984
	s_waitcnt vmcnt(0)
	v_mul_f64 v[0:1], v[104:105], v[100:101]
	v_mul_f64 v[6:7], v[102:103], v[100:101]
	s_delay_alu instid0(VALU_DEP_2) | instskip(NEXT) | instid1(VALU_DEP_2)
	v_fma_f64 v[100:101], v[102:103], v[98:99], -v[0:1]
	;; [unrolled: 7-line block ×3, first 2 shown]
	v_fma_f64 v[108:109], v[110:111], v[104:105], v[2:3]
	global_load_b128 v[110:113], v[4:5], off offset:2368
	s_waitcnt vmcnt(0)
	v_mul_f64 v[0:1], v[120:121], v[112:113]
	v_mul_f64 v[2:3], v[118:119], v[112:113]
	s_delay_alu instid0(VALU_DEP_2) | instskip(SKIP_2) | instid1(VALU_DEP_4)
	v_fma_f64 v[118:119], v[118:119], v[110:111], -v[0:1]
	v_add_co_u32 v0, vcc_lo, 0x16000, v174
	v_add_co_ci_u32_e32 v1, vcc_lo, 0, v49, vcc_lo
	v_fma_f64 v[120:121], v[120:121], v[110:111], v[2:3]
	global_load_b128 v[110:113], v[0:1], off offset:1888
	s_waitcnt vmcnt(0)
	v_mul_f64 v[4:5], v[132:133], v[112:113]
	v_mul_f64 v[2:3], v[134:135], v[112:113]
	s_delay_alu instid0(VALU_DEP_2) | instskip(SKIP_2) | instid1(VALU_DEP_4)
	v_fma_f64 v[134:135], v[134:135], v[110:111], v[4:5]
	v_add_co_u32 v4, vcc_lo, 0x1b000, v174
	v_add_co_ci_u32_e32 v5, vcc_lo, 0, v49, vcc_lo
	v_fma_f64 v[132:133], v[132:133], v[110:111], -v[2:3]
	global_load_b128 v[110:113], v[4:5], off offset:1408
	s_waitcnt vmcnt(0)
	v_mul_f64 v[6:7], v[146:147], v[112:113]
	v_mul_f64 v[2:3], v[148:149], v[112:113]
	s_delay_alu instid0(VALU_DEP_2) | instskip(SKIP_2) | instid1(VALU_DEP_4)
	v_fma_f64 v[148:149], v[148:149], v[110:111], v[6:7]
	v_add_co_u32 v6, vcc_lo, 0x12000, v174
	v_add_co_ci_u32_e32 v7, vcc_lo, 0, v49, vcc_lo
	v_fma_f64 v[146:147], v[146:147], v[110:111], -v[2:3]
	global_load_b128 v[110:113], v[6:7], off offset:272
	s_waitcnt vmcnt(0)
	v_mul_f64 v[2:3], v[202:203], v[112:113]
	v_mul_f64 v[8:9], v[200:201], v[112:113]
	s_delay_alu instid0(VALU_DEP_2) | instskip(NEXT) | instid1(VALU_DEP_2)
	v_fma_f64 v[200:201], v[200:201], v[110:111], -v[2:3]
	v_fma_f64 v[202:203], v[202:203], v[110:111], v[8:9]
	global_load_b128 v[110:113], v[0:1], off offset:3888
	ds_load_b128 v[0:3], v48 offset:34000
	s_waitcnt vmcnt(0) lgkmcnt(0)
	v_mul_f64 v[8:9], v[2:3], v[112:113]
	v_mul_f64 v[10:11], v[0:1], v[112:113]
	s_delay_alu instid0(VALU_DEP_2) | instskip(NEXT) | instid1(VALU_DEP_2)
	v_fma_f64 v[28:29], v[0:1], v[110:111], -v[8:9]
	v_fma_f64 v[30:31], v[2:3], v[110:111], v[10:11]
	global_load_b128 v[110:113], v[4:5], off offset:3408
	ds_load_b128 v[0:3], v48 offset:54000
	s_waitcnt vmcnt(0) lgkmcnt(0)
	v_mul_f64 v[8:9], v[0:1], v[112:113]
	v_mul_f64 v[4:5], v[2:3], v[112:113]
	s_delay_alu instid0(VALU_DEP_2)
	v_fma_f64 v[26:27], v[2:3], v[110:111], v[8:9]
	global_load_b128 v[8:11], v[6:7], off offset:2272
	v_fma_f64 v[24:25], v[0:1], v[110:111], -v[4:5]
	ds_load_b128 v[110:113], v48 offset:16000
	v_add_co_u32 v4, vcc_lo, 0x17000, v174
	v_add_co_ci_u32_e32 v5, vcc_lo, 0, v49, vcc_lo
	v_add_co_u32 v32, vcc_lo, 0x1c000, v174
	v_add_co_ci_u32_e32 v33, vcc_lo, 0, v49, vcc_lo
	s_waitcnt vmcnt(0) lgkmcnt(0)
	v_mul_f64 v[0:1], v[112:113], v[10:11]
	v_mul_f64 v[2:3], v[110:111], v[10:11]
	s_delay_alu instid0(VALU_DEP_2) | instskip(NEXT) | instid1(VALU_DEP_2)
	v_fma_f64 v[110:111], v[110:111], v[8:9], -v[0:1]
	v_fma_f64 v[112:113], v[112:113], v[8:9], v[2:3]
	global_load_b128 v[8:11], v[4:5], off offset:1792
	ds_load_b128 v[0:3], v48 offset:36000
	s_waitcnt vmcnt(0) lgkmcnt(0)
	v_mul_f64 v[6:7], v[2:3], v[10:11]
	v_mul_f64 v[10:11], v[0:1], v[10:11]
	s_delay_alu instid0(VALU_DEP_2) | instskip(NEXT) | instid1(VALU_DEP_2)
	v_fma_f64 v[16:17], v[0:1], v[8:9], -v[6:7]
	v_fma_f64 v[18:19], v[2:3], v[8:9], v[10:11]
	global_load_b128 v[8:11], v[32:33], off offset:1312
	ds_load_b128 v[0:3], v48 offset:56000
	s_waitcnt vmcnt(0) lgkmcnt(0)
	v_mul_f64 v[6:7], v[2:3], v[10:11]
	v_mul_f64 v[10:11], v[0:1], v[10:11]
	s_delay_alu instid0(VALU_DEP_2) | instskip(NEXT) | instid1(VALU_DEP_2)
	v_fma_f64 v[12:13], v[0:1], v[8:9], -v[6:7]
	v_fma_f64 v[14:15], v[2:3], v[8:9], v[10:11]
	global_load_b128 v[8:11], v[130:131], off offset:176
	s_waitcnt vmcnt(0)
	v_mul_f64 v[0:1], v[22:23], v[10:11]
	v_mul_f64 v[2:3], v[20:21], v[10:11]
	s_delay_alu instid0(VALU_DEP_2) | instskip(NEXT) | instid1(VALU_DEP_2)
	v_fma_f64 v[20:21], v[20:21], v[8:9], -v[0:1]
	v_fma_f64 v[22:23], v[22:23], v[8:9], v[2:3]
	global_load_b128 v[8:11], v[4:5], off offset:3792
	ds_load_b128 v[0:3], v48 offset:38000
	s_waitcnt vmcnt(0) lgkmcnt(0)
	v_mul_f64 v[4:5], v[2:3], v[10:11]
	v_mul_f64 v[6:7], v[0:1], v[10:11]
	s_delay_alu instid0(VALU_DEP_2) | instskip(NEXT) | instid1(VALU_DEP_2)
	v_fma_f64 v[4:5], v[0:1], v[8:9], -v[4:5]
	v_fma_f64 v[6:7], v[2:3], v[8:9], v[6:7]
	global_load_b128 v[8:11], v[32:33], off offset:3312
	ds_load_b128 v[0:3], v48 offset:58000
	s_waitcnt vmcnt(0) lgkmcnt(0)
	v_mul_f64 v[32:33], v[2:3], v[10:11]
	v_mul_f64 v[10:11], v[0:1], v[10:11]
	s_delay_alu instid0(VALU_DEP_2) | instskip(NEXT) | instid1(VALU_DEP_2)
	v_fma_f64 v[0:1], v[0:1], v[8:9], -v[32:33]
	v_fma_f64 v[2:3], v[2:3], v[8:9], v[10:11]
	ds_store_b128 v48, v[150:153]
	ds_store_b128 v48, v[140:143] offset:20000
	ds_store_b128 v48, v[136:139] offset:40000
	;; [unrolled: 1-line block ×29, first 2 shown]
	s_waitcnt lgkmcnt(0)
	s_barrier
	buffer_gl0_inv
	ds_load_b128 v[0:3], v48
	ds_load_b128 v[4:7], v48 offset:20000
	ds_load_b128 v[8:11], v48 offset:40000
	s_waitcnt lgkmcnt(1)
	v_add_f64 v[12:13], v[0:1], v[4:5]
	v_add_f64 v[14:15], v[2:3], v[6:7]
	s_waitcnt lgkmcnt(0)
	v_add_f64 v[85:86], v[4:5], v[8:9]
	v_add_f64 v[87:88], v[6:7], -v[10:11]
	v_add_f64 v[89:90], v[6:7], v[10:11]
	v_add_f64 v[91:92], v[4:5], -v[8:9]
	v_add_f64 v[4:5], v[12:13], v[8:9]
	v_add_f64 v[6:7], v[14:15], v[10:11]
	ds_load_b128 v[8:11], v48 offset:22000
	ds_load_b128 v[12:15], v48 offset:2000
	ds_load_b128 v[16:19], v48 offset:42000
	s_waitcnt lgkmcnt(1)
	v_add_f64 v[20:21], v[12:13], v[8:9]
	v_add_f64 v[22:23], v[14:15], v[10:11]
	s_waitcnt lgkmcnt(0)
	v_add_f64 v[93:94], v[8:9], v[16:17]
	v_add_f64 v[95:96], v[10:11], -v[18:19]
	v_add_f64 v[97:98], v[10:11], v[18:19]
	v_add_f64 v[99:100], v[8:9], -v[16:17]
	v_add_f64 v[8:9], v[20:21], v[16:17]
	v_add_f64 v[10:11], v[22:23], v[18:19]
	ds_load_b128 v[16:19], v48 offset:4000
	;; [unrolled: 13-line block ×9, first 2 shown]
	ds_load_b128 v[77:80], v48 offset:38000
	ds_load_b128 v[81:84], v48 offset:58000
	s_waitcnt lgkmcnt(0)
	s_barrier
	buffer_gl0_inv
	v_add_f64 v[202:203], v[73:74], v[77:78]
	v_add_f64 v[254:255], v[77:78], v[81:82]
	v_add_f64 v[172:173], v[77:78], -v[81:82]
	v_add_f64 v[216:217], v[75:76], v[79:80]
	v_add_f64 v[178:179], v[79:80], -v[83:84]
	v_add_f64 v[153:154], v[79:80], v[83:84]
	v_add_f64 v[77:78], v[202:203], v[81:82]
	v_fma_f64 v[81:82], v[85:86], -0.5, v[0:1]
	scratch_load_b32 v85, off, off offset:964 ; 4-byte Folded Reload
	v_add_f64 v[79:80], v[216:217], v[83:84]
	v_fma_f64 v[83:84], v[89:90], -0.5, v[2:3]
	v_fma_f64 v[0:1], v[87:88], s[20:21], v[81:82]
	v_fma_f64 v[81:82], v[87:88], s[18:19], v[81:82]
	s_delay_alu instid0(VALU_DEP_3)
	v_fma_f64 v[2:3], v[91:92], s[18:19], v[83:84]
	v_fma_f64 v[83:84], v[91:92], s[20:21], v[83:84]
	s_waitcnt vmcnt(0)
	ds_store_b128 v85, v[4:7]
	ds_store_b128 v85, v[0:3] offset:16
	ds_store_b128 v85, v[81:84] offset:32
	v_fma_f64 v[2:3], v[93:94], -0.5, v[12:13]
	scratch_load_b32 v12, off, off offset:1116 ; 4-byte Folded Reload
	v_fma_f64 v[6:7], v[97:98], -0.5, v[14:15]
	v_fma_f64 v[0:1], v[95:96], s[20:21], v[2:3]
	v_fma_f64 v[4:5], v[95:96], s[18:19], v[2:3]
	s_delay_alu instid0(VALU_DEP_3)
	v_fma_f64 v[2:3], v[99:100], s[18:19], v[6:7]
	v_fma_f64 v[6:7], v[99:100], s[20:21], v[6:7]
	s_waitcnt vmcnt(0)
	ds_store_b128 v12, v[8:11]
	ds_store_b128 v12, v[0:3] offset:16
	ds_store_b128 v12, v[4:7] offset:32
	scratch_load_b32 v8, off, off offset:1048 ; 4-byte Folded Reload
	v_fma_f64 v[2:3], v[101:102], -0.5, v[16:17]
	v_fma_f64 v[6:7], v[105:106], -0.5, v[18:19]
	s_delay_alu instid0(VALU_DEP_2) | instskip(SKIP_1) | instid1(VALU_DEP_3)
	v_fma_f64 v[0:1], v[103:104], s[20:21], v[2:3]
	v_fma_f64 v[4:5], v[103:104], s[18:19], v[2:3]
	v_fma_f64 v[2:3], v[107:108], s[18:19], v[6:7]
	v_fma_f64 v[6:7], v[107:108], s[20:21], v[6:7]
	s_waitcnt vmcnt(0)
	ds_store_b128 v8, v[20:23]
	ds_store_b128 v8, v[0:3] offset:16
	ds_store_b128 v8, v[4:7] offset:32
	scratch_load_b32 v8, off, off offset:1040 ; 4-byte Folded Reload
	v_fma_f64 v[2:3], v[109:110], -0.5, v[28:29]
	v_fma_f64 v[6:7], v[113:114], -0.5, v[30:31]
	s_delay_alu instid0(VALU_DEP_2) | instskip(SKIP_1) | instid1(VALU_DEP_3)
	v_fma_f64 v[0:1], v[111:112], s[20:21], v[2:3]
	v_fma_f64 v[4:5], v[111:112], s[18:19], v[2:3]
	;; [unrolled: 12-line block ×8, first 2 shown]
	v_fma_f64 v[2:3], v[172:173], s[18:19], v[6:7]
	v_fma_f64 v[6:7], v[172:173], s[20:21], v[6:7]
	s_waitcnt vmcnt(0)
	ds_store_b128 v8, v[77:80]
	ds_store_b128 v8, v[0:3] offset:16
	ds_store_b128 v8, v[4:7] offset:32
	s_waitcnt lgkmcnt(0)
	s_barrier
	buffer_gl0_inv
	s_clause 0x3
	scratch_load_b128 v[6:9], off, off offset:492
	scratch_load_b128 v[10:13], off, off offset:508
	;; [unrolled: 1-line block ×4, first 2 shown]
	ds_load_b128 v[0:3], v48 offset:12000
	s_clause 0x4
	scratch_load_b128 v[26:29], off, off offset:636
	scratch_load_b128 v[38:41], off, off offset:764
	;; [unrolled: 1-line block ×5, first 2 shown]
	s_waitcnt vmcnt(8) lgkmcnt(0)
	v_mul_f64 v[4:5], v[8:9], v[2:3]
	s_delay_alu instid0(VALU_DEP_1) | instskip(SKIP_1) | instid1(VALU_DEP_1)
	v_fma_f64 v[4:5], v[6:7], v[0:1], v[4:5]
	v_mul_f64 v[0:1], v[8:9], v[0:1]
	v_fma_f64 v[6:7], v[6:7], v[2:3], -v[0:1]
	ds_load_b128 v[0:3], v48 offset:24000
	s_waitcnt vmcnt(7) lgkmcnt(0)
	v_mul_f64 v[8:9], v[12:13], v[2:3]
	s_delay_alu instid0(VALU_DEP_1) | instskip(SKIP_1) | instid1(VALU_DEP_1)
	v_fma_f64 v[8:9], v[10:11], v[0:1], v[8:9]
	v_mul_f64 v[0:1], v[12:13], v[0:1]
	v_fma_f64 v[10:11], v[10:11], v[2:3], -v[0:1]
	ds_load_b128 v[0:3], v48 offset:36000
	s_waitcnt vmcnt(6) lgkmcnt(0)
	v_mul_f64 v[12:13], v[16:17], v[2:3]
	s_delay_alu instid0(VALU_DEP_1) | instskip(SKIP_1) | instid1(VALU_DEP_2)
	v_fma_f64 v[12:13], v[14:15], v[0:1], v[12:13]
	v_mul_f64 v[0:1], v[16:17], v[0:1]
	v_add_f64 v[102:103], v[8:9], -v[12:13]
	s_delay_alu instid0(VALU_DEP_2) | instskip(SKIP_4) | instid1(VALU_DEP_2)
	v_fma_f64 v[14:15], v[14:15], v[2:3], -v[0:1]
	ds_load_b128 v[0:3], v48 offset:48000
	s_waitcnt vmcnt(5) lgkmcnt(0)
	v_mul_f64 v[16:17], v[20:21], v[2:3]
	v_add_f64 v[98:99], v[10:11], -v[14:15]
	v_fma_f64 v[90:91], v[18:19], v[0:1], v[16:17]
	v_mul_f64 v[0:1], v[20:21], v[0:1]
	s_delay_alu instid0(VALU_DEP_2) | instskip(NEXT) | instid1(VALU_DEP_2)
	v_add_f64 v[104:105], v[4:5], -v[90:91]
	v_fma_f64 v[94:95], v[18:19], v[2:3], -v[0:1]
	scratch_load_b128 v[18:21], off, off offset:556 ; 16-byte Folded Reload
	ds_load_b128 v[0:3], v48 offset:14000
	v_add_f64 v[100:101], v[6:7], -v[94:95]
	s_waitcnt vmcnt(0) lgkmcnt(0)
	v_mul_f64 v[16:17], v[20:21], v[2:3]
	s_delay_alu instid0(VALU_DEP_1)
	v_fma_f64 v[74:75], v[18:19], v[0:1], v[16:17]
	v_mul_f64 v[0:1], v[20:21], v[0:1]
	scratch_load_b128 v[20:23], off, off offset:572 ; 16-byte Folded Reload
	v_fma_f64 v[18:19], v[18:19], v[2:3], -v[0:1]
	ds_load_b128 v[0:3], v48 offset:26000
	s_waitcnt vmcnt(0) lgkmcnt(0)
	v_mul_f64 v[16:17], v[22:23], v[2:3]
	s_delay_alu instid0(VALU_DEP_1) | instskip(SKIP_1) | instid1(VALU_DEP_1)
	v_fma_f64 v[118:119], v[20:21], v[0:1], v[16:17]
	v_mul_f64 v[0:1], v[22:23], v[0:1]
	v_fma_f64 v[148:149], v[20:21], v[2:3], -v[0:1]
	scratch_load_b128 v[20:23], off, off offset:588 ; 16-byte Folded Reload
	ds_load_b128 v[0:3], v48 offset:38000
	s_waitcnt vmcnt(0) lgkmcnt(0)
	v_mul_f64 v[16:17], v[22:23], v[2:3]
	s_delay_alu instid0(VALU_DEP_1)
	v_fma_f64 v[78:79], v[20:21], v[0:1], v[16:17]
	v_mul_f64 v[0:1], v[22:23], v[0:1]
	scratch_load_b128 v[22:25], off, off offset:604 ; 16-byte Folded Reload
	v_fma_f64 v[16:17], v[20:21], v[2:3], -v[0:1]
	ds_load_b128 v[0:3], v48 offset:50000
	s_waitcnt vmcnt(0) lgkmcnt(0)
	v_mul_f64 v[20:21], v[24:25], v[2:3]
	s_delay_alu instid0(VALU_DEP_1) | instskip(SKIP_1) | instid1(VALU_DEP_1)
	v_fma_f64 v[120:121], v[22:23], v[0:1], v[20:21]
	v_mul_f64 v[0:1], v[24:25], v[0:1]
	v_fma_f64 v[134:135], v[22:23], v[2:3], -v[0:1]
	scratch_load_b128 v[22:25], off, off offset:620 ; 16-byte Folded Reload
	ds_load_b128 v[0:3], v48 offset:16000
	s_waitcnt vmcnt(0) lgkmcnt(0)
	v_mul_f64 v[20:21], v[24:25], v[2:3]
	s_delay_alu instid0(VALU_DEP_1) | instskip(SKIP_1) | instid1(VALU_DEP_1)
	v_fma_f64 v[56:57], v[22:23], v[0:1], v[20:21]
	v_mul_f64 v[0:1], v[24:25], v[0:1]
	v_fma_f64 v[24:25], v[22:23], v[2:3], -v[0:1]
	ds_load_b128 v[0:3], v48 offset:28000
	s_waitcnt lgkmcnt(0)
	v_mul_f64 v[20:21], v[28:29], v[2:3]
	s_delay_alu instid0(VALU_DEP_1) | instskip(SKIP_1) | instid1(VALU_DEP_1)
	v_fma_f64 v[150:151], v[26:27], v[0:1], v[20:21]
	v_mul_f64 v[0:1], v[28:29], v[0:1]
	v_fma_f64 v[22:23], v[26:27], v[2:3], -v[0:1]
	scratch_load_b128 v[26:29], off, off offset:652 ; 16-byte Folded Reload
	ds_load_b128 v[0:3], v48 offset:40000
	s_waitcnt vmcnt(0) lgkmcnt(0)
	v_mul_f64 v[20:21], v[28:29], v[2:3]
	s_delay_alu instid0(VALU_DEP_1) | instskip(SKIP_1) | instid1(VALU_DEP_1)
	v_fma_f64 v[66:67], v[26:27], v[0:1], v[20:21]
	v_mul_f64 v[0:1], v[28:29], v[0:1]
	v_fma_f64 v[112:113], v[26:27], v[2:3], -v[0:1]
	scratch_load_b128 v[26:29], off, off offset:668 ; 16-byte Folded Reload
	ds_load_b128 v[0:3], v48 offset:52000
	s_waitcnt vmcnt(0) lgkmcnt(0)
	v_mul_f64 v[20:21], v[28:29], v[2:3]
	s_delay_alu instid0(VALU_DEP_1)
	v_fma_f64 v[20:21], v[26:27], v[0:1], v[20:21]
	v_mul_f64 v[0:1], v[28:29], v[0:1]
	scratch_load_b128 v[28:31], off, off offset:684 ; 16-byte Folded Reload
	v_fma_f64 v[64:65], v[26:27], v[2:3], -v[0:1]
	ds_load_b128 v[0:3], v48 offset:18000
	s_waitcnt vmcnt(0) lgkmcnt(0)
	v_mul_f64 v[26:27], v[30:31], v[2:3]
	s_delay_alu instid0(VALU_DEP_1) | instskip(SKIP_1) | instid1(VALU_DEP_1)
	v_fma_f64 v[70:71], v[28:29], v[0:1], v[26:27]
	v_mul_f64 v[0:1], v[30:31], v[0:1]
	v_fma_f64 v[80:81], v[28:29], v[2:3], -v[0:1]
	scratch_load_b128 v[28:31], off, off offset:700 ; 16-byte Folded Reload
	ds_load_b128 v[0:3], v48 offset:30000
	s_waitcnt vmcnt(0) lgkmcnt(0)
	v_mul_f64 v[26:27], v[30:31], v[2:3]
	s_delay_alu instid0(VALU_DEP_1) | instskip(SKIP_1) | instid1(VALU_DEP_1)
	v_fma_f64 v[216:217], v[28:29], v[0:1], v[26:27]
	v_mul_f64 v[0:1], v[30:31], v[0:1]
	v_fma_f64 v[254:255], v[28:29], v[2:3], -v[0:1]
	scratch_load_b128 v[28:31], off, off offset:716 ; 16-byte Folded Reload
	ds_load_b128 v[0:3], v48 offset:42000
	s_waitcnt vmcnt(0) lgkmcnt(0)
	v_mul_f64 v[26:27], v[30:31], v[2:3]
	s_delay_alu instid0(VALU_DEP_1)
	v_fma_f64 v[68:69], v[28:29], v[0:1], v[26:27]
	v_mul_f64 v[0:1], v[30:31], v[0:1]
	scratch_load_b128 v[30:33], off, off offset:732 ; 16-byte Folded Reload
	v_fma_f64 v[28:29], v[28:29], v[2:3], -v[0:1]
	ds_load_b128 v[0:3], v48 offset:54000
	s_waitcnt vmcnt(0) lgkmcnt(0)
	v_mul_f64 v[26:27], v[32:33], v[2:3]
	s_delay_alu instid0(VALU_DEP_1)
	v_fma_f64 v[26:27], v[30:31], v[0:1], v[26:27]
	v_mul_f64 v[0:1], v[32:33], v[0:1]
	scratch_load_b128 v[32:35], off, off offset:748 ; 16-byte Folded Reload
	v_fma_f64 v[58:59], v[30:31], v[2:3], -v[0:1]
	ds_load_b128 v[0:3], v48 offset:20000
	s_waitcnt vmcnt(0) lgkmcnt(0)
	v_mul_f64 v[30:31], v[34:35], v[2:3]
	s_delay_alu instid0(VALU_DEP_1) | instskip(SKIP_1) | instid1(VALU_DEP_1)
	v_fma_f64 v[36:37], v[32:33], v[0:1], v[30:31]
	v_mul_f64 v[0:1], v[34:35], v[0:1]
	v_fma_f64 v[32:33], v[32:33], v[2:3], -v[0:1]
	ds_load_b128 v[0:3], v48 offset:32000
	s_waitcnt lgkmcnt(0)
	v_mul_f64 v[30:31], v[40:41], v[2:3]
	s_delay_alu instid0(VALU_DEP_1) | instskip(SKIP_1) | instid1(VALU_DEP_1)
	v_fma_f64 v[42:43], v[38:39], v[0:1], v[30:31]
	v_mul_f64 v[0:1], v[40:41], v[0:1]
	v_fma_f64 v[34:35], v[38:39], v[2:3], -v[0:1]
	ds_load_b128 v[0:3], v48 offset:44000
	s_waitcnt lgkmcnt(0)
	;; [unrolled: 7-line block ×3, first 2 shown]
	v_mul_f64 v[30:31], v[51:52], v[2:3]
	s_delay_alu instid0(VALU_DEP_1) | instskip(SKIP_1) | instid1(VALU_DEP_1)
	v_fma_f64 v[46:47], v[49:50], v[0:1], v[30:31]
	v_mul_f64 v[0:1], v[51:52], v[0:1]
	v_fma_f64 v[44:45], v[49:50], v[2:3], -v[0:1]
	scratch_load_b128 v[49:52], off, off offset:820 ; 16-byte Folded Reload
	ds_load_b128 v[0:3], v48 offset:22000
	s_waitcnt vmcnt(0) lgkmcnt(0)
	v_mul_f64 v[30:31], v[51:52], v[2:3]
	s_delay_alu instid0(VALU_DEP_1) | instskip(SKIP_1) | instid1(VALU_DEP_1)
	v_fma_f64 v[62:63], v[49:50], v[0:1], v[30:31]
	v_mul_f64 v[0:1], v[51:52], v[0:1]
	v_fma_f64 v[76:77], v[49:50], v[2:3], -v[0:1]
	ds_load_b128 v[0:3], v48 offset:34000
	s_waitcnt lgkmcnt(0)
	v_mul_f64 v[30:31], v[84:85], v[2:3]
	s_delay_alu instid0(VALU_DEP_1) | instskip(SKIP_1) | instid1(VALU_DEP_1)
	v_fma_f64 v[52:53], v[82:83], v[0:1], v[30:31]
	v_mul_f64 v[0:1], v[84:85], v[0:1]
	v_fma_f64 v[72:73], v[82:83], v[2:3], -v[0:1]
	scratch_load_b128 v[82:85], off, off offset:852 ; 16-byte Folded Reload
	ds_load_b128 v[0:3], v48 offset:46000
	s_waitcnt vmcnt(0) lgkmcnt(0)
	v_mul_f64 v[30:31], v[84:85], v[2:3]
	s_delay_alu instid0(VALU_DEP_1) | instskip(SKIP_1) | instid1(VALU_DEP_1)
	v_fma_f64 v[54:55], v[82:83], v[0:1], v[30:31]
	v_mul_f64 v[0:1], v[84:85], v[0:1]
	v_fma_f64 v[60:61], v[82:83], v[2:3], -v[0:1]
	scratch_load_b128 v[82:85], off, off offset:872 ; 16-byte Folded Reload
	ds_load_b128 v[0:3], v48 offset:58000
	s_waitcnt vmcnt(0) lgkmcnt(0)
	v_mul_f64 v[30:31], v[84:85], v[2:3]
	s_delay_alu instid0(VALU_DEP_1) | instskip(SKIP_1) | instid1(VALU_DEP_1)
	v_fma_f64 v[30:31], v[82:83], v[0:1], v[30:31]
	v_mul_f64 v[0:1], v[84:85], v[0:1]
	v_fma_f64 v[50:51], v[82:83], v[2:3], -v[0:1]
	v_add_f64 v[0:1], v[8:9], -v[4:5]
	v_add_f64 v[2:3], v[12:13], -v[90:91]
	v_add_f64 v[82:83], v[4:5], v[90:91]
	s_delay_alu instid0(VALU_DEP_2) | instskip(SKIP_2) | instid1(VALU_DEP_1)
	v_add_f64 v[86:87], v[0:1], v[2:3]
	v_add_f64 v[0:1], v[10:11], -v[6:7]
	v_add_f64 v[2:3], v[14:15], -v[94:95]
	v_add_f64 v[88:89], v[0:1], v[2:3]
	ds_load_b128 v[0:3], v48
	s_waitcnt lgkmcnt(0)
	v_fma_f64 v[92:93], v[82:83], -0.5, v[0:1]
	v_add_f64 v[82:83], v[6:7], v[94:95]
	s_delay_alu instid0(VALU_DEP_1) | instskip(NEXT) | instid1(VALU_DEP_3)
	v_fma_f64 v[96:97], v[82:83], -0.5, v[2:3]
	v_fma_f64 v[82:83], v[98:99], s[12:13], v[92:93]
	v_fma_f64 v[92:93], v[98:99], s[14:15], v[92:93]
	s_delay_alu instid0(VALU_DEP_3) | instskip(NEXT) | instid1(VALU_DEP_3)
	v_fma_f64 v[84:85], v[102:103], s[14:15], v[96:97]
	v_fma_f64 v[82:83], v[100:101], s[8:9], v[82:83]
	;; [unrolled: 1-line block ×3, first 2 shown]
	s_delay_alu instid0(VALU_DEP_4) | instskip(NEXT) | instid1(VALU_DEP_4)
	v_fma_f64 v[92:93], v[100:101], s[2:3], v[92:93]
	v_fma_f64 v[84:85], v[104:105], s[2:3], v[84:85]
	s_delay_alu instid0(VALU_DEP_4) | instskip(NEXT) | instid1(VALU_DEP_4)
	v_fma_f64 v[82:83], v[86:87], s[16:17], v[82:83]
	v_fma_f64 v[96:97], v[104:105], s[8:9], v[96:97]
	s_delay_alu instid0(VALU_DEP_4) | instskip(SKIP_2) | instid1(VALU_DEP_4)
	v_fma_f64 v[86:87], v[86:87], s[16:17], v[92:93]
	v_add_f64 v[92:93], v[8:9], v[12:13]
	v_fma_f64 v[84:85], v[88:89], s[16:17], v[84:85]
	v_fma_f64 v[88:89], v[88:89], s[16:17], v[96:97]
	s_delay_alu instid0(VALU_DEP_3) | instskip(SKIP_3) | instid1(VALU_DEP_3)
	v_fma_f64 v[96:97], v[92:93], -0.5, v[0:1]
	v_add_f64 v[92:93], v[10:11], v[14:15]
	v_add_f64 v[0:1], v[0:1], v[4:5]
	v_add_f64 v[4:5], v[4:5], -v[8:9]
	v_fma_f64 v[106:107], v[92:93], -0.5, v[2:3]
	v_add_f64 v[2:3], v[2:3], v[6:7]
	s_delay_alu instid0(VALU_DEP_4) | instskip(SKIP_2) | instid1(VALU_DEP_4)
	v_add_f64 v[0:1], v[0:1], v[8:9]
	v_add_f64 v[6:7], v[6:7], -v[10:11]
	v_add_f64 v[8:9], v[90:91], -v[12:13]
	v_add_f64 v[2:3], v[2:3], v[10:11]
	s_delay_alu instid0(VALU_DEP_4)
	v_add_f64 v[0:1], v[0:1], v[12:13]
	v_fma_f64 v[10:11], v[100:101], s[12:13], v[96:97]
	v_fma_f64 v[12:13], v[104:105], s[12:13], v[106:107]
	v_add_f64 v[4:5], v[4:5], v[8:9]
	v_add_f64 v[2:3], v[2:3], v[14:15]
	;; [unrolled: 1-line block ×3, first 2 shown]
	v_add_f64 v[0:1], v[94:95], -v[14:15]
	v_fma_f64 v[14:15], v[104:105], s[14:15], v[106:107]
	v_fma_f64 v[8:9], v[102:103], s[2:3], v[12:13]
	v_add_f64 v[92:93], v[2:3], v[94:95]
	v_fma_f64 v[2:3], v[100:101], s[14:15], v[96:97]
	v_add_f64 v[0:1], v[6:7], v[0:1]
	v_fma_f64 v[6:7], v[98:99], s[2:3], v[10:11]
	v_fma_f64 v[10:11], v[102:103], s[8:9], v[14:15]
	s_delay_alu instid0(VALU_DEP_4) | instskip(NEXT) | instid1(VALU_DEP_4)
	v_fma_f64 v[2:3], v[98:99], s[8:9], v[2:3]
	v_fma_f64 v[96:97], v[0:1], s[16:17], v[8:9]
	s_delay_alu instid0(VALU_DEP_4) | instskip(NEXT) | instid1(VALU_DEP_4)
	v_fma_f64 v[98:99], v[4:5], s[16:17], v[6:7]
	v_fma_f64 v[100:101], v[0:1], s[16:17], v[10:11]
	s_delay_alu instid0(VALU_DEP_4)
	v_fma_f64 v[94:95], v[4:5], s[16:17], v[2:3]
	ds_load_b128 v[0:3], v48 offset:10000
	ds_load_b128 v[102:105], v48 offset:2000
	;; [unrolled: 1-line block ×5, first 2 shown]
	s_waitcnt lgkmcnt(0)
	s_barrier
	buffer_gl0_inv
	scratch_load_b32 v49, off, off offset:1324 ; 4-byte Folded Reload
	s_waitcnt vmcnt(0)
	ds_store_b128 v49, v[90:93]
	ds_store_b128 v49, v[94:97] offset:48
	ds_store_b128 v49, v[82:85] offset:96
	;; [unrolled: 1-line block ×4, first 2 shown]
	v_add_f64 v[82:83], v[118:119], -v[74:75]
	v_add_f64 v[84:85], v[78:79], -v[120:121]
	;; [unrolled: 1-line block ×4, first 2 shown]
	scratch_load_b32 v49, off, off offset:1188 ; 4-byte Folded Reload
	v_add_f64 v[98:99], v[118:119], -v[78:79]
	v_add_f64 v[100:101], v[74:75], -v[120:121]
	v_add_f64 v[86:87], v[82:83], v[84:85]
	v_add_f64 v[82:83], v[148:149], -v[18:19]
	v_add_f64 v[84:85], v[16:17], -v[134:135]
	s_delay_alu instid0(VALU_DEP_1) | instskip(SKIP_1) | instid1(VALU_DEP_1)
	v_add_f64 v[88:89], v[82:83], v[84:85]
	v_add_f64 v[82:83], v[74:75], v[120:121]
	v_fma_f64 v[90:91], v[82:83], -0.5, v[102:103]
	v_add_f64 v[82:83], v[18:19], v[134:135]
	s_delay_alu instid0(VALU_DEP_1) | instskip(NEXT) | instid1(VALU_DEP_3)
	v_fma_f64 v[92:93], v[82:83], -0.5, v[104:105]
	v_fma_f64 v[82:83], v[94:95], s[12:13], v[90:91]
	v_fma_f64 v[90:91], v[94:95], s[14:15], v[90:91]
	s_delay_alu instid0(VALU_DEP_3) | instskip(NEXT) | instid1(VALU_DEP_3)
	v_fma_f64 v[84:85], v[98:99], s[14:15], v[92:93]
	v_fma_f64 v[82:83], v[96:97], s[8:9], v[82:83]
	s_delay_alu instid0(VALU_DEP_3) | instskip(SKIP_1) | instid1(VALU_DEP_4)
	v_fma_f64 v[90:91], v[96:97], s[2:3], v[90:91]
	v_fma_f64 v[92:93], v[98:99], s[12:13], v[92:93]
	;; [unrolled: 1-line block ×3, first 2 shown]
	s_delay_alu instid0(VALU_DEP_4) | instskip(NEXT) | instid1(VALU_DEP_4)
	v_fma_f64 v[82:83], v[86:87], s[16:17], v[82:83]
	v_fma_f64 v[86:87], v[86:87], s[16:17], v[90:91]
	v_add_f64 v[90:91], v[118:119], v[78:79]
	v_fma_f64 v[92:93], v[100:101], s[8:9], v[92:93]
	v_fma_f64 v[84:85], v[88:89], s[16:17], v[84:85]
	s_delay_alu instid0(VALU_DEP_3) | instskip(SKIP_1) | instid1(VALU_DEP_4)
	v_fma_f64 v[106:107], v[90:91], -0.5, v[102:103]
	v_add_f64 v[90:91], v[148:149], v[16:17]
	v_fma_f64 v[88:89], v[88:89], s[16:17], v[92:93]
	v_add_f64 v[92:93], v[104:105], v[18:19]
	v_add_f64 v[18:19], v[18:19], -v[148:149]
	s_delay_alu instid0(VALU_DEP_4) | instskip(SKIP_1) | instid1(VALU_DEP_4)
	v_fma_f64 v[108:109], v[90:91], -0.5, v[104:105]
	v_add_f64 v[90:91], v[102:103], v[74:75]
	v_add_f64 v[92:93], v[92:93], v[148:149]
	v_add_f64 v[74:75], v[74:75], -v[118:119]
	v_fma_f64 v[102:103], v[96:97], s[14:15], v[106:107]
	v_fma_f64 v[96:97], v[96:97], s[12:13], v[106:107]
	;; [unrolled: 1-line block ×3, first 2 shown]
	v_add_f64 v[90:91], v[90:91], v[118:119]
	v_add_f64 v[92:93], v[92:93], v[16:17]
	v_add_f64 v[16:17], v[134:135], -v[16:17]
	v_fma_f64 v[100:101], v[100:101], s[14:15], v[108:109]
	s_delay_alu instid0(VALU_DEP_4) | instskip(SKIP_2) | instid1(VALU_DEP_3)
	v_add_f64 v[90:91], v[90:91], v[78:79]
	v_add_f64 v[78:79], v[120:121], -v[78:79]
	v_add_f64 v[92:93], v[92:93], v[134:135]
	v_add_f64 v[90:91], v[90:91], v[120:121]
	s_delay_alu instid0(VALU_DEP_3)
	v_add_f64 v[74:75], v[74:75], v[78:79]
	v_add_f64 v[78:79], v[18:19], v[16:17]
	v_fma_f64 v[16:17], v[94:95], s[8:9], v[102:103]
	v_fma_f64 v[18:19], v[98:99], s[2:3], v[104:105]
	;; [unrolled: 1-line block ×4, first 2 shown]
	s_delay_alu instid0(VALU_DEP_4) | instskip(NEXT) | instid1(VALU_DEP_4)
	v_fma_f64 v[16:17], v[74:75], s[16:17], v[16:17]
	v_fma_f64 v[18:19], v[78:79], s[16:17], v[18:19]
	s_delay_alu instid0(VALU_DEP_4) | instskip(NEXT) | instid1(VALU_DEP_4)
	v_fma_f64 v[94:95], v[74:75], s[16:17], v[94:95]
	v_fma_f64 v[96:97], v[78:79], s[16:17], v[96:97]
	s_waitcnt vmcnt(0)
	ds_store_b128 v49, v[90:93]
	ds_store_b128 v49, v[16:19] offset:48
	ds_store_b128 v49, v[82:85] offset:96
	ds_store_b128 v49, v[86:89] offset:144
	ds_store_b128 v49, v[94:97] offset:192
	v_add_f64 v[16:17], v[150:151], -v[56:57]
	v_add_f64 v[18:19], v[66:67], -v[20:21]
	;; [unrolled: 1-line block ×6, first 2 shown]
	v_add_f64 v[74:75], v[16:17], v[18:19]
	v_add_f64 v[16:17], v[22:23], -v[24:25]
	v_add_f64 v[18:19], v[112:113], -v[64:65]
	s_delay_alu instid0(VALU_DEP_1) | instskip(SKIP_1) | instid1(VALU_DEP_1)
	v_add_f64 v[78:79], v[16:17], v[18:19]
	v_add_f64 v[16:17], v[56:57], v[20:21]
	v_fma_f64 v[82:83], v[16:17], -0.5, v[12:13]
	v_add_f64 v[16:17], v[24:25], v[64:65]
	s_delay_alu instid0(VALU_DEP_1) | instskip(NEXT) | instid1(VALU_DEP_3)
	v_fma_f64 v[84:85], v[16:17], -0.5, v[14:15]
	v_fma_f64 v[16:17], v[86:87], s[12:13], v[82:83]
	v_fma_f64 v[82:83], v[86:87], s[14:15], v[82:83]
	s_delay_alu instid0(VALU_DEP_3) | instskip(SKIP_1) | instid1(VALU_DEP_4)
	v_fma_f64 v[18:19], v[90:91], s[14:15], v[84:85]
	v_fma_f64 v[84:85], v[90:91], s[12:13], v[84:85]
	;; [unrolled: 1-line block ×3, first 2 shown]
	s_delay_alu instid0(VALU_DEP_4) | instskip(NEXT) | instid1(VALU_DEP_4)
	v_fma_f64 v[82:83], v[88:89], s[2:3], v[82:83]
	v_fma_f64 v[18:19], v[92:93], s[2:3], v[18:19]
	s_delay_alu instid0(VALU_DEP_4) | instskip(NEXT) | instid1(VALU_DEP_4)
	v_fma_f64 v[84:85], v[92:93], s[8:9], v[84:85]
	v_fma_f64 v[16:17], v[74:75], s[16:17], v[16:17]
	s_delay_alu instid0(VALU_DEP_4) | instskip(SKIP_4) | instid1(VALU_DEP_4)
	v_fma_f64 v[82:83], v[74:75], s[16:17], v[82:83]
	v_add_f64 v[74:75], v[150:151], v[66:67]
	v_fma_f64 v[18:19], v[78:79], s[16:17], v[18:19]
	v_fma_f64 v[84:85], v[78:79], s[16:17], v[84:85]
	v_add_f64 v[78:79], v[22:23], v[112:113]
	v_fma_f64 v[74:75], v[74:75], -0.5, v[12:13]
	v_add_f64 v[12:13], v[12:13], v[56:57]
	v_add_f64 v[56:57], v[56:57], -v[150:151]
	s_delay_alu instid0(VALU_DEP_4) | instskip(SKIP_1) | instid1(VALU_DEP_4)
	v_fma_f64 v[78:79], v[78:79], -0.5, v[14:15]
	v_add_f64 v[14:15], v[14:15], v[24:25]
	v_add_f64 v[12:13], v[12:13], v[150:151]
	s_delay_alu instid0(VALU_DEP_2) | instskip(SKIP_1) | instid1(VALU_DEP_3)
	v_add_f64 v[14:15], v[14:15], v[22:23]
	v_add_f64 v[22:23], v[24:25], -v[22:23]
	v_add_f64 v[12:13], v[12:13], v[66:67]
	v_add_f64 v[24:25], v[20:21], -v[66:67]
	v_fma_f64 v[66:67], v[88:89], s[12:13], v[74:75]
	v_add_f64 v[14:15], v[14:15], v[112:113]
	s_delay_alu instid0(VALU_DEP_4) | instskip(SKIP_2) | instid1(VALU_DEP_4)
	v_add_f64 v[12:13], v[12:13], v[20:21]
	v_add_f64 v[20:21], v[64:65], -v[112:113]
	v_add_f64 v[24:25], v[56:57], v[24:25]
	v_add_f64 v[14:15], v[14:15], v[64:65]
	v_fma_f64 v[64:65], v[88:89], s[14:15], v[74:75]
	v_fma_f64 v[74:75], v[92:93], s[12:13], v[78:79]
	v_add_f64 v[56:57], v[22:23], v[20:21]
	v_fma_f64 v[78:79], v[92:93], s[14:15], v[78:79]
	s_delay_alu instid0(VALU_DEP_4) | instskip(SKIP_2) | instid1(VALU_DEP_4)
	v_fma_f64 v[20:21], v[86:87], s[8:9], v[64:65]
	v_fma_f64 v[64:65], v[86:87], s[2:3], v[66:67]
	;; [unrolled: 1-line block ×4, first 2 shown]
	v_add_f64 v[74:75], v[80:81], -v[254:255]
	v_fma_f64 v[20:21], v[24:25], s[16:17], v[20:21]
	v_fma_f64 v[64:65], v[24:25], s[16:17], v[64:65]
	scratch_load_b32 v24, off, off offset:1120 ; 4-byte Folded Reload
	v_fma_f64 v[22:23], v[56:57], s[16:17], v[22:23]
	v_fma_f64 v[66:67], v[56:57], s[16:17], v[66:67]
	s_waitcnt vmcnt(0)
	ds_store_b128 v24, v[12:15]
	ds_store_b128 v24, v[20:23] offset:48
	ds_store_b128 v24, v[16:19] offset:96
	ds_store_b128 v24, v[82:85] offset:144
	ds_store_b128 v24, v[64:67] offset:192
	v_add_f64 v[12:13], v[216:217], -v[70:71]
	v_add_f64 v[14:15], v[68:69], -v[26:27]
	;; [unrolled: 1-line block ×6, first 2 shown]
	v_add_f64 v[16:17], v[12:13], v[14:15]
	v_add_f64 v[12:13], v[254:255], -v[80:81]
	v_add_f64 v[14:15], v[28:29], -v[58:59]
	s_delay_alu instid0(VALU_DEP_1) | instskip(SKIP_1) | instid1(VALU_DEP_1)
	v_add_f64 v[18:19], v[12:13], v[14:15]
	v_add_f64 v[12:13], v[70:71], v[26:27]
	v_fma_f64 v[20:21], v[12:13], -0.5, v[8:9]
	v_add_f64 v[12:13], v[80:81], v[58:59]
	s_delay_alu instid0(VALU_DEP_1) | instskip(NEXT) | instid1(VALU_DEP_3)
	v_fma_f64 v[22:23], v[12:13], -0.5, v[10:11]
	v_fma_f64 v[12:13], v[24:25], s[12:13], v[20:21]
	v_fma_f64 v[20:21], v[24:25], s[14:15], v[20:21]
	s_delay_alu instid0(VALU_DEP_3) | instskip(NEXT) | instid1(VALU_DEP_3)
	v_fma_f64 v[14:15], v[64:65], s[14:15], v[22:23]
	v_fma_f64 v[12:13], v[56:57], s[8:9], v[12:13]
	;; [unrolled: 1-line block ×3, first 2 shown]
	s_delay_alu instid0(VALU_DEP_4) | instskip(NEXT) | instid1(VALU_DEP_4)
	v_fma_f64 v[20:21], v[56:57], s[2:3], v[20:21]
	v_fma_f64 v[14:15], v[66:67], s[2:3], v[14:15]
	s_delay_alu instid0(VALU_DEP_4) | instskip(NEXT) | instid1(VALU_DEP_4)
	v_fma_f64 v[12:13], v[16:17], s[16:17], v[12:13]
	v_fma_f64 v[22:23], v[66:67], s[8:9], v[22:23]
	s_delay_alu instid0(VALU_DEP_4) | instskip(SKIP_2) | instid1(VALU_DEP_4)
	v_fma_f64 v[16:17], v[16:17], s[16:17], v[20:21]
	v_add_f64 v[20:21], v[216:217], v[68:69]
	v_fma_f64 v[14:15], v[18:19], s[16:17], v[14:15]
	v_fma_f64 v[18:19], v[18:19], s[16:17], v[22:23]
	v_add_f64 v[22:23], v[254:255], v[28:29]
	s_delay_alu instid0(VALU_DEP_4) | instskip(SKIP_2) | instid1(VALU_DEP_4)
	v_fma_f64 v[20:21], v[20:21], -0.5, v[8:9]
	v_add_f64 v[8:9], v[8:9], v[70:71]
	v_add_f64 v[70:71], v[70:71], -v[216:217]
	v_fma_f64 v[22:23], v[22:23], -0.5, v[10:11]
	v_add_f64 v[10:11], v[10:11], v[80:81]
	s_delay_alu instid0(VALU_DEP_4) | instskip(NEXT) | instid1(VALU_DEP_2)
	v_add_f64 v[8:9], v[8:9], v[216:217]
	v_add_f64 v[10:11], v[10:11], v[254:255]
	s_delay_alu instid0(VALU_DEP_2) | instskip(SKIP_1) | instid1(VALU_DEP_3)
	v_add_f64 v[8:9], v[8:9], v[68:69]
	v_add_f64 v[68:69], v[26:27], -v[68:69]
	v_add_f64 v[10:11], v[10:11], v[28:29]
	s_delay_alu instid0(VALU_DEP_3)
	v_add_f64 v[8:9], v[8:9], v[26:27]
	v_add_f64 v[26:27], v[58:59], -v[28:29]
	v_fma_f64 v[28:29], v[56:57], s[14:15], v[20:21]
	v_fma_f64 v[20:21], v[56:57], s[12:13], v[20:21]
	;; [unrolled: 1-line block ×4, first 2 shown]
	v_add_f64 v[10:11], v[10:11], v[58:59]
	v_add_f64 v[58:59], v[70:71], v[68:69]
	;; [unrolled: 1-line block ×3, first 2 shown]
	v_fma_f64 v[28:29], v[24:25], s[8:9], v[28:29]
	v_fma_f64 v[24:25], v[24:25], s[2:3], v[20:21]
	;; [unrolled: 1-line block ×4, first 2 shown]
	s_delay_alu instid0(VALU_DEP_4)
	v_fma_f64 v[20:21], v[58:59], s[16:17], v[28:29]
	scratch_load_b32 v28, off, off offset:1044 ; 4-byte Folded Reload
	v_fma_f64 v[22:23], v[26:27], s[16:17], v[56:57]
	v_fma_f64 v[24:25], v[58:59], s[16:17], v[24:25]
	;; [unrolled: 1-line block ×3, first 2 shown]
	s_waitcnt vmcnt(0)
	ds_store_b128 v28, v[8:11]
	ds_store_b128 v28, v[20:23] offset:48
	ds_store_b128 v28, v[12:15] offset:96
	;; [unrolled: 1-line block ×4, first 2 shown]
	v_add_f64 v[8:9], v[42:43], -v[36:37]
	v_add_f64 v[10:11], v[40:41], -v[46:47]
	;; [unrolled: 1-line block ×7, first 2 shown]
	v_add_f64 v[12:13], v[8:9], v[10:11]
	v_add_f64 v[8:9], v[34:35], -v[32:33]
	v_add_f64 v[10:11], v[38:39], -v[44:45]
	s_delay_alu instid0(VALU_DEP_1) | instskip(SKIP_1) | instid1(VALU_DEP_1)
	v_add_f64 v[14:15], v[8:9], v[10:11]
	v_add_f64 v[8:9], v[36:37], v[46:47]
	v_fma_f64 v[16:17], v[8:9], -0.5, v[4:5]
	v_add_f64 v[8:9], v[32:33], v[44:45]
	s_delay_alu instid0(VALU_DEP_1) | instskip(NEXT) | instid1(VALU_DEP_3)
	v_fma_f64 v[18:19], v[8:9], -0.5, v[6:7]
	v_fma_f64 v[8:9], v[20:21], s[12:13], v[16:17]
	v_fma_f64 v[16:17], v[20:21], s[14:15], v[16:17]
	s_delay_alu instid0(VALU_DEP_3) | instskip(SKIP_1) | instid1(VALU_DEP_4)
	v_fma_f64 v[10:11], v[24:25], s[14:15], v[18:19]
	v_fma_f64 v[18:19], v[24:25], s[12:13], v[18:19]
	;; [unrolled: 1-line block ×3, first 2 shown]
	s_delay_alu instid0(VALU_DEP_4) | instskip(NEXT) | instid1(VALU_DEP_4)
	v_fma_f64 v[16:17], v[22:23], s[2:3], v[16:17]
	v_fma_f64 v[10:11], v[26:27], s[2:3], v[10:11]
	s_delay_alu instid0(VALU_DEP_4) | instskip(NEXT) | instid1(VALU_DEP_4)
	v_fma_f64 v[18:19], v[26:27], s[8:9], v[18:19]
	v_fma_f64 v[8:9], v[12:13], s[16:17], v[8:9]
	s_delay_alu instid0(VALU_DEP_4) | instskip(SKIP_4) | instid1(VALU_DEP_4)
	v_fma_f64 v[12:13], v[12:13], s[16:17], v[16:17]
	v_add_f64 v[16:17], v[42:43], v[40:41]
	v_fma_f64 v[10:11], v[14:15], s[16:17], v[10:11]
	v_fma_f64 v[14:15], v[14:15], s[16:17], v[18:19]
	v_add_f64 v[18:19], v[34:35], v[38:39]
	v_fma_f64 v[16:17], v[16:17], -0.5, v[4:5]
	v_add_f64 v[4:5], v[4:5], v[36:37]
	s_delay_alu instid0(VALU_DEP_3) | instskip(SKIP_1) | instid1(VALU_DEP_4)
	v_fma_f64 v[18:19], v[18:19], -0.5, v[6:7]
	v_add_f64 v[6:7], v[6:7], v[32:33]
	v_fma_f64 v[36:37], v[22:23], s[14:15], v[16:17]
	v_fma_f64 v[16:17], v[22:23], s[12:13], v[16:17]
	v_add_f64 v[22:23], v[46:47], -v[40:41]
	v_add_f64 v[32:33], v[32:33], -v[34:35]
	v_add_f64 v[4:5], v[4:5], v[42:43]
	v_add_f64 v[6:7], v[6:7], v[34:35]
	v_add_f64 v[34:35], v[44:45], -v[38:39]
	v_add_f64 v[22:23], v[28:29], v[22:23]
	s_delay_alu instid0(VALU_DEP_4) | instskip(NEXT) | instid1(VALU_DEP_4)
	v_add_f64 v[4:5], v[4:5], v[40:41]
	v_add_f64 v[6:7], v[6:7], v[38:39]
	v_fma_f64 v[38:39], v[26:27], s[12:13], v[18:19]
	v_fma_f64 v[18:19], v[26:27], s[14:15], v[18:19]
	;; [unrolled: 1-line block ×4, first 2 shown]
	v_add_f64 v[28:29], v[32:33], v[34:35]
	v_add_f64 v[4:5], v[4:5], v[46:47]
	;; [unrolled: 1-line block ×3, first 2 shown]
	v_fma_f64 v[32:33], v[24:25], s[2:3], v[38:39]
	v_fma_f64 v[24:25], v[24:25], s[8:9], v[18:19]
	;; [unrolled: 1-line block ×4, first 2 shown]
	s_delay_alu instid0(VALU_DEP_4) | instskip(NEXT) | instid1(VALU_DEP_4)
	v_fma_f64 v[18:19], v[28:29], s[16:17], v[32:33]
	v_fma_f64 v[22:23], v[28:29], s[16:17], v[24:25]
	scratch_load_b32 v24, off, off offset:956 ; 4-byte Folded Reload
	s_waitcnt vmcnt(0)
	ds_store_b128 v24, v[4:7]
	ds_store_b128 v24, v[16:19] offset:48
	ds_store_b128 v24, v[8:11] offset:96
	;; [unrolled: 1-line block ×4, first 2 shown]
	v_add_f64 v[4:5], v[52:53], -v[62:63]
	v_add_f64 v[6:7], v[54:55], -v[30:31]
	;; [unrolled: 1-line block ×8, first 2 shown]
	v_add_f64 v[8:9], v[4:5], v[6:7]
	v_add_f64 v[4:5], v[72:73], -v[76:77]
	v_add_f64 v[6:7], v[60:61], -v[50:51]
	s_delay_alu instid0(VALU_DEP_1) | instskip(SKIP_2) | instid1(VALU_DEP_2)
	v_add_f64 v[10:11], v[4:5], v[6:7]
	v_add_f64 v[4:5], v[62:63], v[30:31]
	;; [unrolled: 1-line block ×3, first 2 shown]
	v_fma_f64 v[12:13], v[4:5], -0.5, v[0:1]
	s_delay_alu instid0(VALU_DEP_2) | instskip(NEXT) | instid1(VALU_DEP_2)
	v_fma_f64 v[18:19], v[6:7], -0.5, v[2:3]
	v_fma_f64 v[4:5], v[14:15], s[12:13], v[12:13]
	s_delay_alu instid0(VALU_DEP_2) | instskip(SKIP_2) | instid1(VALU_DEP_4)
	v_fma_f64 v[6:7], v[20:21], s[14:15], v[18:19]
	v_fma_f64 v[12:13], v[14:15], s[14:15], v[12:13]
	;; [unrolled: 1-line block ×4, first 2 shown]
	s_delay_alu instid0(VALU_DEP_4) | instskip(NEXT) | instid1(VALU_DEP_4)
	v_fma_f64 v[6:7], v[22:23], s[2:3], v[6:7]
	v_fma_f64 v[12:13], v[16:17], s[2:3], v[12:13]
	s_delay_alu instid0(VALU_DEP_4) | instskip(NEXT) | instid1(VALU_DEP_4)
	v_fma_f64 v[18:19], v[22:23], s[8:9], v[18:19]
	v_fma_f64 v[4:5], v[8:9], s[16:17], v[4:5]
	;; [unrolled: 3-line block ×3, first 2 shown]
	s_delay_alu instid0(VALU_DEP_4) | instskip(SKIP_2) | instid1(VALU_DEP_2)
	v_fma_f64 v[10:11], v[10:11], s[16:17], v[18:19]
	v_add_f64 v[12:13], v[52:53], v[54:55]
	v_add_f64 v[18:19], v[72:73], v[60:61]
	v_fma_f64 v[12:13], v[12:13], -0.5, v[0:1]
	s_delay_alu instid0(VALU_DEP_2) | instskip(SKIP_2) | instid1(VALU_DEP_4)
	v_fma_f64 v[18:19], v[18:19], -0.5, v[2:3]
	v_add_f64 v[0:1], v[0:1], v[62:63]
	v_add_f64 v[2:3], v[2:3], v[76:77]
	v_fma_f64 v[26:27], v[16:17], s[14:15], v[12:13]
	v_fma_f64 v[12:13], v[16:17], s[12:13], v[12:13]
	v_add_f64 v[16:17], v[30:31], -v[54:55]
	v_fma_f64 v[32:33], v[22:23], s[12:13], v[18:19]
	v_fma_f64 v[18:19], v[22:23], s[14:15], v[18:19]
	v_add_f64 v[0:1], v[0:1], v[52:53]
	v_add_f64 v[2:3], v[2:3], v[72:73]
	v_fma_f64 v[22:23], v[14:15], s[8:9], v[26:27]
	v_add_f64 v[16:17], v[24:25], v[16:17]
	v_fma_f64 v[24:25], v[14:15], s[2:3], v[12:13]
	v_fma_f64 v[14:15], v[20:21], s[2:3], v[32:33]
	;; [unrolled: 1-line block ×3, first 2 shown]
	scratch_load_b32 v20, off, off offset:812 ; 4-byte Folded Reload
	v_add_f64 v[0:1], v[0:1], v[54:55]
	v_add_f64 v[2:3], v[2:3], v[60:61]
	v_fma_f64 v[12:13], v[16:17], s[16:17], v[22:23]
	v_fma_f64 v[16:17], v[16:17], s[16:17], v[24:25]
	s_delay_alu instid0(VALU_DEP_4) | instskip(SKIP_2) | instid1(VALU_DEP_2)
	v_add_f64 v[0:1], v[0:1], v[30:31]
	v_add_f64 v[30:31], v[50:51], -v[60:61]
	v_add_f64 v[2:3], v[2:3], v[50:51]
	v_add_f64 v[26:27], v[28:29], v[30:31]
	s_delay_alu instid0(VALU_DEP_1)
	v_fma_f64 v[14:15], v[26:27], s[16:17], v[14:15]
	v_fma_f64 v[18:19], v[26:27], s[16:17], v[18:19]
	s_waitcnt vmcnt(0)
	ds_store_b128 v20, v[0:3]
	ds_store_b128 v20, v[12:15] offset:48
	ds_store_b128 v20, v[4:7] offset:96
	;; [unrolled: 1-line block ×4, first 2 shown]
	s_waitcnt lgkmcnt(0)
	s_barrier
	buffer_gl0_inv
	s_clause 0x3
	scratch_load_b128 v[6:9], off, off offset:888
	scratch_load_b128 v[10:13], off, off offset:904
	;; [unrolled: 1-line block ×4, first 2 shown]
	ds_load_b128 v[0:3], v48 offset:12000
	s_clause 0x1
	scratch_load_b128 v[24:27], off, off offset:1172
	scratch_load_b128 v[82:85], off, off offset:1344
	s_waitcnt vmcnt(5) lgkmcnt(0)
	v_mul_f64 v[4:5], v[8:9], v[2:3]
	s_delay_alu instid0(VALU_DEP_1) | instskip(SKIP_1) | instid1(VALU_DEP_1)
	v_fma_f64 v[4:5], v[6:7], v[0:1], v[4:5]
	v_mul_f64 v[0:1], v[8:9], v[0:1]
	v_fma_f64 v[6:7], v[6:7], v[2:3], -v[0:1]
	ds_load_b128 v[0:3], v48 offset:24000
	s_waitcnt vmcnt(4) lgkmcnt(0)
	v_mul_f64 v[8:9], v[12:13], v[2:3]
	s_delay_alu instid0(VALU_DEP_1) | instskip(SKIP_1) | instid1(VALU_DEP_1)
	v_fma_f64 v[8:9], v[10:11], v[0:1], v[8:9]
	v_mul_f64 v[0:1], v[12:13], v[0:1]
	v_fma_f64 v[10:11], v[10:11], v[2:3], -v[0:1]
	ds_load_b128 v[0:3], v48 offset:36000
	s_waitcnt vmcnt(3) lgkmcnt(0)
	v_mul_f64 v[12:13], v[16:17], v[2:3]
	s_delay_alu instid0(VALU_DEP_1) | instskip(SKIP_1) | instid1(VALU_DEP_2)
	v_fma_f64 v[12:13], v[14:15], v[0:1], v[12:13]
	v_mul_f64 v[0:1], v[16:17], v[0:1]
	v_add_f64 v[102:103], v[8:9], -v[12:13]
	s_delay_alu instid0(VALU_DEP_2) | instskip(SKIP_4) | instid1(VALU_DEP_2)
	v_fma_f64 v[14:15], v[14:15], v[2:3], -v[0:1]
	ds_load_b128 v[0:3], v48 offset:48000
	s_waitcnt vmcnt(2) lgkmcnt(0)
	v_mul_f64 v[16:17], v[20:21], v[2:3]
	v_add_f64 v[96:97], v[10:11], -v[14:15]
	v_fma_f64 v[90:91], v[18:19], v[0:1], v[16:17]
	v_mul_f64 v[0:1], v[20:21], v[0:1]
	s_delay_alu instid0(VALU_DEP_2) | instskip(NEXT) | instid1(VALU_DEP_2)
	v_add_f64 v[104:105], v[4:5], -v[90:91]
	v_fma_f64 v[94:95], v[18:19], v[2:3], -v[0:1]
	scratch_load_b128 v[18:21], off, off offset:972 ; 16-byte Folded Reload
	ds_load_b128 v[0:3], v48 offset:14000
	v_add_f64 v[98:99], v[6:7], -v[94:95]
	s_waitcnt vmcnt(0) lgkmcnt(0)
	v_mul_f64 v[16:17], v[20:21], v[2:3]
	s_delay_alu instid0(VALU_DEP_1) | instskip(SKIP_1) | instid1(VALU_DEP_1)
	v_fma_f64 v[72:73], v[18:19], v[0:1], v[16:17]
	v_mul_f64 v[0:1], v[20:21], v[0:1]
	v_fma_f64 v[62:63], v[18:19], v[2:3], -v[0:1]
	scratch_load_b128 v[18:21], off, off offset:988 ; 16-byte Folded Reload
	ds_load_b128 v[0:3], v48 offset:26000
	s_waitcnt vmcnt(0) lgkmcnt(0)
	v_mul_f64 v[16:17], v[20:21], v[2:3]
	s_delay_alu instid0(VALU_DEP_1) | instskip(SKIP_1) | instid1(VALU_DEP_1)
	v_fma_f64 v[76:77], v[18:19], v[0:1], v[16:17]
	v_mul_f64 v[0:1], v[20:21], v[0:1]
	v_fma_f64 v[64:65], v[18:19], v[2:3], -v[0:1]
	scratch_load_b128 v[18:21], off, off offset:1004 ; 16-byte Folded Reload
	ds_load_b128 v[0:3], v48 offset:38000
	;; [unrolled: 8-line block ×8, first 2 shown]
	s_waitcnt vmcnt(0) lgkmcnt(0)
	v_mul_f64 v[16:17], v[20:21], v[2:3]
	s_delay_alu instid0(VALU_DEP_1)
	v_fma_f64 v[216:217], v[18:19], v[0:1], v[16:17]
	v_mul_f64 v[0:1], v[20:21], v[0:1]
	scratch_load_b128 v[20:23], off, off offset:1140 ; 16-byte Folded Reload
	v_fma_f64 v[16:17], v[18:19], v[2:3], -v[0:1]
	ds_load_b128 v[0:3], v48 offset:30000
	s_waitcnt vmcnt(0) lgkmcnt(0)
	v_mul_f64 v[18:19], v[22:23], v[2:3]
	s_delay_alu instid0(VALU_DEP_1) | instskip(SKIP_1) | instid1(VALU_DEP_1)
	v_fma_f64 v[50:51], v[20:21], v[0:1], v[18:19]
	v_mul_f64 v[0:1], v[22:23], v[0:1]
	v_fma_f64 v[70:71], v[20:21], v[2:3], -v[0:1]
	scratch_load_b128 v[20:23], off, off offset:1156 ; 16-byte Folded Reload
	ds_load_b128 v[0:3], v48 offset:42000
	s_waitcnt vmcnt(0) lgkmcnt(0)
	v_mul_f64 v[18:19], v[22:23], v[2:3]
	s_delay_alu instid0(VALU_DEP_1) | instskip(SKIP_1) | instid1(VALU_DEP_1)
	v_fma_f64 v[68:69], v[20:21], v[0:1], v[18:19]
	v_mul_f64 v[0:1], v[22:23], v[0:1]
	v_fma_f64 v[254:255], v[20:21], v[2:3], -v[0:1]
	ds_load_b128 v[0:3], v48 offset:54000
	s_waitcnt lgkmcnt(0)
	v_mul_f64 v[18:19], v[26:27], v[2:3]
	s_delay_alu instid0(VALU_DEP_1) | instskip(SKIP_1) | instid1(VALU_DEP_1)
	v_fma_f64 v[22:23], v[24:25], v[0:1], v[18:19]
	v_mul_f64 v[0:1], v[26:27], v[0:1]
	v_fma_f64 v[18:19], v[24:25], v[2:3], -v[0:1]
	scratch_load_b128 v[24:27], off, off offset:1196 ; 16-byte Folded Reload
	ds_load_b128 v[0:3], v48 offset:20000
	s_waitcnt vmcnt(0) lgkmcnt(0)
	v_mul_f64 v[20:21], v[26:27], v[2:3]
	s_delay_alu instid0(VALU_DEP_1) | instskip(SKIP_1) | instid1(VALU_DEP_1)
	v_fma_f64 v[36:37], v[24:25], v[0:1], v[20:21]
	v_mul_f64 v[0:1], v[26:27], v[0:1]
	v_fma_f64 v[32:33], v[24:25], v[2:3], -v[0:1]
	scratch_load_b128 v[24:27], off, off offset:1212 ; 16-byte Folded Reload
	ds_load_b128 v[0:3], v48 offset:32000
	s_waitcnt vmcnt(0) lgkmcnt(0)
	;; [unrolled: 8-line block ×5, first 2 shown]
	v_mul_f64 v[20:21], v[26:27], v[2:3]
	s_delay_alu instid0(VALU_DEP_1) | instskip(SKIP_1) | instid1(VALU_DEP_1)
	v_fma_f64 v[20:21], v[24:25], v[0:1], v[20:21]
	v_mul_f64 v[0:1], v[26:27], v[0:1]
	v_fma_f64 v[80:81], v[24:25], v[2:3], -v[0:1]
	ds_load_b128 v[0:3], v48 offset:34000
	s_waitcnt lgkmcnt(0)
	v_mul_f64 v[24:25], v[252:253], v[2:3]
	s_delay_alu instid0(VALU_DEP_1) | instskip(SKIP_1) | instid1(VALU_DEP_1)
	v_fma_f64 v[26:27], v[250:251], v[0:1], v[24:25]
	v_mul_f64 v[0:1], v[252:253], v[0:1]
	v_fma_f64 v[250:251], v[250:251], v[2:3], -v[0:1]
	ds_load_b128 v[0:3], v48 offset:46000
	s_waitcnt lgkmcnt(0)
	;; [unrolled: 7-line block ×3, first 2 shown]
	v_mul_f64 v[28:29], v[84:85], v[2:3]
	s_delay_alu instid0(VALU_DEP_1) | instskip(SKIP_2) | instid1(VALU_DEP_2)
	v_fma_f64 v[30:31], v[82:83], v[0:1], v[28:29]
	v_mul_f64 v[0:1], v[84:85], v[0:1]
	v_add_f64 v[84:85], v[6:7], v[94:95]
	v_fma_f64 v[28:29], v[82:83], v[2:3], -v[0:1]
	v_add_f64 v[0:1], v[8:9], -v[4:5]
	v_add_f64 v[2:3], v[12:13], -v[90:91]
	v_add_f64 v[82:83], v[4:5], v[90:91]
	s_delay_alu instid0(VALU_DEP_2) | instskip(SKIP_2) | instid1(VALU_DEP_1)
	v_add_f64 v[86:87], v[0:1], v[2:3]
	v_add_f64 v[0:1], v[10:11], -v[6:7]
	v_add_f64 v[2:3], v[14:15], -v[94:95]
	v_add_f64 v[88:89], v[0:1], v[2:3]
	ds_load_b128 v[0:3], v48
	s_waitcnt lgkmcnt(0)
	v_fma_f64 v[92:93], v[82:83], -0.5, v[0:1]
	v_fma_f64 v[100:101], v[84:85], -0.5, v[2:3]
	s_delay_alu instid0(VALU_DEP_2) | instskip(NEXT) | instid1(VALU_DEP_2)
	v_fma_f64 v[82:83], v[96:97], s[12:13], v[92:93]
	v_fma_f64 v[84:85], v[102:103], s[14:15], v[100:101]
	;; [unrolled: 1-line block ×4, first 2 shown]
	s_delay_alu instid0(VALU_DEP_4) | instskip(NEXT) | instid1(VALU_DEP_4)
	v_fma_f64 v[82:83], v[98:99], s[8:9], v[82:83]
	v_fma_f64 v[84:85], v[104:105], s[2:3], v[84:85]
	s_delay_alu instid0(VALU_DEP_4) | instskip(NEXT) | instid1(VALU_DEP_4)
	v_fma_f64 v[92:93], v[98:99], s[2:3], v[92:93]
	v_fma_f64 v[100:101], v[104:105], s[8:9], v[100:101]
	;; [unrolled: 3-line block ×4, first 2 shown]
	v_add_f64 v[92:93], v[8:9], v[12:13]
	v_add_f64 v[100:101], v[10:11], v[14:15]
	s_delay_alu instid0(VALU_DEP_2) | instskip(NEXT) | instid1(VALU_DEP_2)
	v_fma_f64 v[92:93], v[92:93], -0.5, v[0:1]
	v_fma_f64 v[100:101], v[100:101], -0.5, v[2:3]
	v_add_f64 v[0:1], v[0:1], v[4:5]
	v_add_f64 v[2:3], v[2:3], v[6:7]
	v_add_f64 v[4:5], v[4:5], -v[8:9]
	s_delay_alu instid0(VALU_DEP_3) | instskip(NEXT) | instid1(VALU_DEP_3)
	v_add_f64 v[0:1], v[0:1], v[8:9]
	v_add_f64 v[2:3], v[2:3], v[10:11]
	v_fma_f64 v[8:9], v[98:99], s[14:15], v[92:93]
	v_fma_f64 v[98:99], v[98:99], s[12:13], v[92:93]
	s_delay_alu instid0(VALU_DEP_4) | instskip(NEXT) | instid1(VALU_DEP_4)
	v_add_f64 v[0:1], v[0:1], v[12:13]
	v_add_f64 v[2:3], v[2:3], v[14:15]
	v_add_f64 v[12:13], v[90:91], -v[12:13]
	v_fma_f64 v[8:9], v[96:97], s[8:9], v[8:9]
	s_delay_alu instid0(VALU_DEP_4) | instskip(NEXT) | instid1(VALU_DEP_4)
	v_add_f64 v[90:91], v[0:1], v[90:91]
	v_add_f64 v[92:93], v[2:3], v[94:95]
	v_add_f64 v[0:1], v[6:7], -v[10:11]
	v_add_f64 v[2:3], v[94:95], -v[14:15]
	v_fma_f64 v[6:7], v[104:105], s[12:13], v[100:101]
	v_fma_f64 v[10:11], v[104:105], s[14:15], v[100:101]
	v_add_f64 v[4:5], v[4:5], v[12:13]
	v_fma_f64 v[12:13], v[96:97], s[2:3], v[98:99]
	v_add_f64 v[0:1], v[0:1], v[2:3]
	v_fma_f64 v[2:3], v[102:103], s[2:3], v[6:7]
	v_fma_f64 v[6:7], v[102:103], s[8:9], v[10:11]
	;; [unrolled: 1-line block ×4, first 2 shown]
	s_delay_alu instid0(VALU_DEP_4) | instskip(NEXT) | instid1(VALU_DEP_4)
	v_fma_f64 v[96:97], v[0:1], s[16:17], v[2:3]
	v_fma_f64 v[100:101], v[0:1], s[16:17], v[6:7]
	ds_load_b128 v[0:3], v48 offset:10000
	ds_load_b128 v[102:105], v48 offset:2000
	;; [unrolled: 1-line block ×5, first 2 shown]
	s_waitcnt lgkmcnt(0)
	s_barrier
	buffer_gl0_inv
	scratch_load_b32 v49, off, off offset:1536 ; 4-byte Folded Reload
	s_waitcnt vmcnt(0)
	ds_store_b128 v49, v[90:93]
	ds_store_b128 v49, v[94:97] offset:240
	ds_store_b128 v49, v[82:85] offset:480
	ds_store_b128 v49, v[86:89] offset:720
	ds_store_b128 v49, v[98:101] offset:960
	v_add_f64 v[82:83], v[76:77], -v[72:73]
	v_add_f64 v[84:85], v[78:79], -v[120:121]
	;; [unrolled: 1-line block ×5, first 2 shown]
	scratch_load_b32 v49, off, off offset:1468 ; 4-byte Folded Reload
	v_add_f64 v[100:101], v[72:73], -v[120:121]
	v_add_f64 v[86:87], v[82:83], v[84:85]
	v_add_f64 v[82:83], v[64:65], -v[62:63]
	v_add_f64 v[84:85], v[74:75], -v[118:119]
	s_delay_alu instid0(VALU_DEP_1) | instskip(SKIP_2) | instid1(VALU_DEP_2)
	v_add_f64 v[88:89], v[82:83], v[84:85]
	v_add_f64 v[82:83], v[72:73], v[120:121]
	;; [unrolled: 1-line block ×3, first 2 shown]
	v_fma_f64 v[90:91], v[82:83], -0.5, v[102:103]
	s_delay_alu instid0(VALU_DEP_2) | instskip(NEXT) | instid1(VALU_DEP_2)
	v_fma_f64 v[96:97], v[84:85], -0.5, v[104:105]
	v_fma_f64 v[82:83], v[92:93], s[12:13], v[90:91]
	v_fma_f64 v[90:91], v[92:93], s[14:15], v[90:91]
	s_delay_alu instid0(VALU_DEP_3) | instskip(SKIP_1) | instid1(VALU_DEP_4)
	v_fma_f64 v[84:85], v[98:99], s[14:15], v[96:97]
	v_fma_f64 v[96:97], v[98:99], s[12:13], v[96:97]
	;; [unrolled: 1-line block ×3, first 2 shown]
	s_delay_alu instid0(VALU_DEP_4) | instskip(NEXT) | instid1(VALU_DEP_4)
	v_fma_f64 v[90:91], v[94:95], s[2:3], v[90:91]
	v_fma_f64 v[84:85], v[100:101], s[2:3], v[84:85]
	s_delay_alu instid0(VALU_DEP_4) | instskip(NEXT) | instid1(VALU_DEP_4)
	v_fma_f64 v[96:97], v[100:101], s[8:9], v[96:97]
	v_fma_f64 v[82:83], v[86:87], s[16:17], v[82:83]
	s_delay_alu instid0(VALU_DEP_4) | instskip(SKIP_4) | instid1(VALU_DEP_4)
	v_fma_f64 v[86:87], v[86:87], s[16:17], v[90:91]
	v_add_f64 v[90:91], v[76:77], v[78:79]
	v_fma_f64 v[84:85], v[88:89], s[16:17], v[84:85]
	v_fma_f64 v[88:89], v[88:89], s[16:17], v[96:97]
	v_add_f64 v[96:97], v[64:65], v[74:75]
	v_fma_f64 v[90:91], v[90:91], -0.5, v[102:103]
	v_add_f64 v[102:103], v[102:103], v[72:73]
	v_add_f64 v[72:73], v[72:73], -v[76:77]
	s_delay_alu instid0(VALU_DEP_4)
	v_fma_f64 v[96:97], v[96:97], -0.5, v[104:105]
	v_add_f64 v[104:105], v[104:105], v[62:63]
	v_add_f64 v[62:63], v[62:63], -v[64:65]
	v_fma_f64 v[106:107], v[94:95], s[14:15], v[90:91]
	v_add_f64 v[102:103], v[102:103], v[76:77]
	v_fma_f64 v[90:91], v[94:95], s[12:13], v[90:91]
	v_add_f64 v[76:77], v[104:105], v[64:65]
	v_add_f64 v[104:105], v[120:121], -v[78:79]
	v_add_f64 v[64:65], v[118:119], -v[74:75]
	v_add_f64 v[94:95], v[102:103], v[78:79]
	v_fma_f64 v[90:91], v[92:93], s[2:3], v[90:91]
	v_add_f64 v[102:103], v[76:77], v[74:75]
	v_fma_f64 v[74:75], v[100:101], s[12:13], v[96:97]
	v_add_f64 v[72:73], v[72:73], v[104:105]
	v_add_f64 v[76:77], v[94:95], v[120:121]
	v_fma_f64 v[94:95], v[100:101], s[14:15], v[96:97]
	v_fma_f64 v[96:97], v[92:93], s[8:9], v[106:107]
	v_add_f64 v[92:93], v[62:63], v[64:65]
	v_fma_f64 v[64:65], v[98:99], s[2:3], v[74:75]
	v_add_f64 v[78:79], v[102:103], v[118:119]
	v_fma_f64 v[74:75], v[98:99], s[8:9], v[94:95]
	v_fma_f64 v[62:63], v[72:73], s[16:17], v[96:97]
	;; [unrolled: 1-line block ×4, first 2 shown]
	s_delay_alu instid0(VALU_DEP_4)
	v_fma_f64 v[74:75], v[92:93], s[16:17], v[74:75]
	s_waitcnt vmcnt(0)
	ds_store_b128 v49, v[76:79]
	ds_store_b128 v49, v[62:65] offset:240
	ds_store_b128 v49, v[82:85] offset:480
	;; [unrolled: 1-line block ×4, first 2 shown]
	v_add_f64 v[62:63], v[60:61], -v[54:55]
	v_add_f64 v[64:65], v[112:113], -v[150:151]
	;; [unrolled: 1-line block ×4, first 2 shown]
	scratch_load_b32 v49, off, off offset:1448 ; 4-byte Folded Reload
	v_add_f64 v[78:79], v[58:59], -v[56:57]
	v_add_f64 v[82:83], v[52:53], -v[66:67]
	v_add_f64 v[72:73], v[62:63], v[64:65]
	v_add_f64 v[62:63], v[58:59], -v[52:53]
	v_add_f64 v[64:65], v[56:57], -v[66:67]
	s_delay_alu instid0(VALU_DEP_1) | instskip(SKIP_2) | instid1(VALU_DEP_2)
	v_add_f64 v[74:75], v[62:63], v[64:65]
	v_add_f64 v[64:65], v[52:53], v[66:67]
	v_add_f64 v[62:63], v[54:55], v[150:151]
	v_fma_f64 v[84:85], v[64:65], -0.5, v[14:15]
	s_delay_alu instid0(VALU_DEP_2) | instskip(NEXT) | instid1(VALU_DEP_2)
	v_fma_f64 v[76:77], v[62:63], -0.5, v[12:13]
	v_fma_f64 v[64:65], v[86:87], s[14:15], v[84:85]
	v_fma_f64 v[84:85], v[86:87], s[12:13], v[84:85]
	s_delay_alu instid0(VALU_DEP_3) | instskip(SKIP_1) | instid1(VALU_DEP_4)
	v_fma_f64 v[62:63], v[78:79], s[12:13], v[76:77]
	v_fma_f64 v[76:77], v[78:79], s[14:15], v[76:77]
	;; [unrolled: 1-line block ×3, first 2 shown]
	s_delay_alu instid0(VALU_DEP_4) | instskip(NEXT) | instid1(VALU_DEP_4)
	v_fma_f64 v[84:85], v[88:89], s[8:9], v[84:85]
	v_fma_f64 v[62:63], v[82:83], s[8:9], v[62:63]
	s_delay_alu instid0(VALU_DEP_4) | instskip(NEXT) | instid1(VALU_DEP_4)
	v_fma_f64 v[76:77], v[82:83], s[2:3], v[76:77]
	v_fma_f64 v[64:65], v[74:75], s[16:17], v[64:65]
	s_delay_alu instid0(VALU_DEP_4) | instskip(SKIP_4) | instid1(VALU_DEP_4)
	v_fma_f64 v[74:75], v[74:75], s[16:17], v[84:85]
	v_add_f64 v[84:85], v[58:59], v[56:57]
	v_fma_f64 v[62:63], v[72:73], s[16:17], v[62:63]
	v_fma_f64 v[72:73], v[72:73], s[16:17], v[76:77]
	v_add_f64 v[76:77], v[60:61], v[112:113]
	v_fma_f64 v[84:85], v[84:85], -0.5, v[14:15]
	v_add_f64 v[14:15], v[14:15], v[52:53]
	v_add_f64 v[52:53], v[52:53], -v[58:59]
	s_delay_alu instid0(VALU_DEP_4) | instskip(SKIP_4) | instid1(VALU_DEP_4)
	v_fma_f64 v[76:77], v[76:77], -0.5, v[12:13]
	v_add_f64 v[12:13], v[12:13], v[54:55]
	v_add_f64 v[54:55], v[54:55], -v[60:61]
	v_add_f64 v[14:15], v[14:15], v[58:59]
	v_fma_f64 v[58:59], v[88:89], s[12:13], v[84:85]
	v_add_f64 v[12:13], v[12:13], v[60:61]
	v_fma_f64 v[60:61], v[82:83], s[14:15], v[76:77]
	v_fma_f64 v[76:77], v[82:83], s[12:13], v[76:77]
	v_add_f64 v[82:83], v[150:151], -v[112:113]
	v_add_f64 v[14:15], v[14:15], v[56:57]
	v_add_f64 v[56:57], v[66:67], -v[56:57]
	v_add_f64 v[12:13], v[12:13], v[112:113]
	s_delay_alu instid0(VALU_DEP_4)
	v_add_f64 v[82:83], v[54:55], v[82:83]
	v_fma_f64 v[54:55], v[78:79], s[8:9], v[60:61]
	v_fma_f64 v[60:61], v[78:79], s[2:3], v[76:77]
	v_add_f64 v[14:15], v[14:15], v[66:67]
	v_fma_f64 v[66:67], v[88:89], s[14:15], v[84:85]
	v_add_f64 v[76:77], v[52:53], v[56:57]
	;; [unrolled: 2-line block ×3, first 2 shown]
	v_fma_f64 v[52:53], v[82:83], s[16:17], v[54:55]
	v_fma_f64 v[58:59], v[86:87], s[8:9], v[66:67]
	v_add_f64 v[66:67], v[216:217], -v[22:23]
	v_fma_f64 v[54:55], v[76:77], s[16:17], v[56:57]
	v_fma_f64 v[56:57], v[82:83], s[16:17], v[60:61]
	v_add_f64 v[60:61], v[16:17], -v[18:19]
	v_fma_f64 v[58:59], v[76:77], s[16:17], v[58:59]
	s_waitcnt vmcnt(0)
	ds_store_b128 v49, v[12:15]
	ds_store_b128 v49, v[52:55] offset:240
	ds_store_b128 v49, v[62:65] offset:480
	;; [unrolled: 1-line block ×4, first 2 shown]
	v_add_f64 v[12:13], v[50:51], -v[216:217]
	v_add_f64 v[14:15], v[68:69], -v[22:23]
	;; [unrolled: 1-line block ×4, first 2 shown]
	s_delay_alu instid0(VALU_DEP_3) | instskip(SKIP_2) | instid1(VALU_DEP_1)
	v_add_f64 v[52:53], v[12:13], v[14:15]
	v_add_f64 v[12:13], v[70:71], -v[16:17]
	v_add_f64 v[14:15], v[254:255], -v[18:19]
	v_add_f64 v[54:55], v[12:13], v[14:15]
	v_add_f64 v[12:13], v[216:217], v[22:23]
	;; [unrolled: 1-line block ×3, first 2 shown]
	s_delay_alu instid0(VALU_DEP_2) | instskip(NEXT) | instid1(VALU_DEP_2)
	v_fma_f64 v[56:57], v[12:13], -0.5, v[8:9]
	v_fma_f64 v[62:63], v[14:15], -0.5, v[10:11]
	s_delay_alu instid0(VALU_DEP_2) | instskip(NEXT) | instid1(VALU_DEP_2)
	v_fma_f64 v[12:13], v[58:59], s[12:13], v[56:57]
	v_fma_f64 v[14:15], v[64:65], s[14:15], v[62:63]
	;; [unrolled: 1-line block ×4, first 2 shown]
	s_delay_alu instid0(VALU_DEP_4) | instskip(NEXT) | instid1(VALU_DEP_4)
	v_fma_f64 v[12:13], v[60:61], s[8:9], v[12:13]
	v_fma_f64 v[14:15], v[66:67], s[2:3], v[14:15]
	s_delay_alu instid0(VALU_DEP_4) | instskip(NEXT) | instid1(VALU_DEP_4)
	v_fma_f64 v[56:57], v[60:61], s[2:3], v[56:57]
	v_fma_f64 v[62:63], v[66:67], s[8:9], v[62:63]
	;; [unrolled: 3-line block ×4, first 2 shown]
	v_add_f64 v[56:57], v[50:51], v[68:69]
	v_add_f64 v[62:63], v[70:71], v[254:255]
	s_delay_alu instid0(VALU_DEP_2) | instskip(NEXT) | instid1(VALU_DEP_2)
	v_fma_f64 v[56:57], v[56:57], -0.5, v[8:9]
	v_fma_f64 v[62:63], v[62:63], -0.5, v[10:11]
	v_add_f64 v[8:9], v[8:9], v[216:217]
	v_add_f64 v[10:11], v[10:11], v[16:17]
	v_add_f64 v[16:17], v[16:17], -v[70:71]
	v_fma_f64 v[72:73], v[60:61], s[14:15], v[56:57]
	v_fma_f64 v[56:57], v[60:61], s[12:13], v[56:57]
	v_add_f64 v[8:9], v[8:9], v[50:51]
	v_add_f64 v[10:11], v[10:11], v[70:71]
	v_add_f64 v[49:50], v[216:217], -v[50:51]
	v_add_f64 v[60:61], v[22:23], -v[68:69]
	v_fma_f64 v[56:57], v[58:59], s[2:3], v[56:57]
	v_add_f64 v[8:9], v[8:9], v[68:69]
	v_add_f64 v[10:11], v[10:11], v[254:255]
	s_delay_alu instid0(VALU_DEP_4) | instskip(SKIP_1) | instid1(VALU_DEP_4)
	v_add_f64 v[49:50], v[49:50], v[60:61]
	v_fma_f64 v[60:61], v[58:59], s[8:9], v[72:73]
	v_add_f64 v[8:9], v[8:9], v[22:23]
	s_delay_alu instid0(VALU_DEP_4) | instskip(SKIP_4) | instid1(VALU_DEP_4)
	v_add_f64 v[10:11], v[10:11], v[18:19]
	v_add_f64 v[18:19], v[18:19], -v[254:255]
	v_fma_f64 v[22:23], v[66:67], s[12:13], v[62:63]
	v_fma_f64 v[62:63], v[66:67], s[14:15], v[62:63]
	;; [unrolled: 1-line block ×3, first 2 shown]
	v_add_f64 v[58:59], v[16:17], v[18:19]
	s_delay_alu instid0(VALU_DEP_4) | instskip(NEXT) | instid1(VALU_DEP_4)
	v_fma_f64 v[18:19], v[64:65], s[2:3], v[22:23]
	v_fma_f64 v[22:23], v[64:65], s[8:9], v[62:63]
	;; [unrolled: 1-line block ×3, first 2 shown]
	s_delay_alu instid0(VALU_DEP_3) | instskip(NEXT) | instid1(VALU_DEP_3)
	v_fma_f64 v[18:19], v[58:59], s[16:17], v[18:19]
	v_fma_f64 v[58:59], v[58:59], s[16:17], v[22:23]
	scratch_load_b32 v22, off, off offset:1428 ; 4-byte Folded Reload
	s_waitcnt vmcnt(0)
	ds_store_b128 v22, v[8:11]
	ds_store_b128 v22, v[16:19] offset:240
	ds_store_b128 v22, v[12:15] offset:480
	;; [unrolled: 1-line block ×4, first 2 shown]
	v_add_f64 v[8:9], v[42:43], -v[36:37]
	v_add_f64 v[10:11], v[40:41], -v[46:47]
	;; [unrolled: 1-line block ×6, first 2 shown]
	v_add_f64 v[12:13], v[8:9], v[10:11]
	v_add_f64 v[8:9], v[34:35], -v[32:33]
	v_add_f64 v[10:11], v[38:39], -v[44:45]
	s_delay_alu instid0(VALU_DEP_1) | instskip(SKIP_2) | instid1(VALU_DEP_2)
	v_add_f64 v[14:15], v[8:9], v[10:11]
	v_add_f64 v[8:9], v[36:37], v[46:47]
	;; [unrolled: 1-line block ×3, first 2 shown]
	v_fma_f64 v[16:17], v[8:9], -0.5, v[4:5]
	s_delay_alu instid0(VALU_DEP_2) | instskip(NEXT) | instid1(VALU_DEP_2)
	v_fma_f64 v[49:50], v[10:11], -0.5, v[6:7]
	v_fma_f64 v[8:9], v[18:19], s[12:13], v[16:17]
	v_fma_f64 v[16:17], v[18:19], s[14:15], v[16:17]
	s_delay_alu instid0(VALU_DEP_3) | instskip(SKIP_1) | instid1(VALU_DEP_4)
	v_fma_f64 v[10:11], v[51:52], s[14:15], v[49:50]
	v_fma_f64 v[49:50], v[51:52], s[12:13], v[49:50]
	;; [unrolled: 1-line block ×3, first 2 shown]
	s_delay_alu instid0(VALU_DEP_4) | instskip(NEXT) | instid1(VALU_DEP_4)
	v_fma_f64 v[16:17], v[22:23], s[2:3], v[16:17]
	v_fma_f64 v[10:11], v[53:54], s[2:3], v[10:11]
	s_delay_alu instid0(VALU_DEP_4) | instskip(NEXT) | instid1(VALU_DEP_4)
	v_fma_f64 v[49:50], v[53:54], s[8:9], v[49:50]
	v_fma_f64 v[8:9], v[12:13], s[16:17], v[8:9]
	s_delay_alu instid0(VALU_DEP_4) | instskip(SKIP_4) | instid1(VALU_DEP_4)
	v_fma_f64 v[12:13], v[12:13], s[16:17], v[16:17]
	v_add_f64 v[16:17], v[42:43], v[40:41]
	v_fma_f64 v[10:11], v[14:15], s[16:17], v[10:11]
	v_fma_f64 v[14:15], v[14:15], s[16:17], v[49:50]
	v_add_f64 v[49:50], v[34:35], v[38:39]
	v_fma_f64 v[16:17], v[16:17], -0.5, v[4:5]
	v_add_f64 v[4:5], v[4:5], v[36:37]
	v_add_f64 v[36:37], v[36:37], -v[42:43]
	s_delay_alu instid0(VALU_DEP_4)
	v_fma_f64 v[49:50], v[49:50], -0.5, v[6:7]
	v_add_f64 v[6:7], v[6:7], v[32:33]
	v_add_f64 v[32:33], v[32:33], -v[34:35]
	v_add_f64 v[4:5], v[4:5], v[42:43]
	v_fma_f64 v[42:43], v[22:23], s[14:15], v[16:17]
	v_fma_f64 v[16:17], v[22:23], s[12:13], v[16:17]
	v_add_f64 v[22:23], v[46:47], -v[40:41]
	v_add_f64 v[6:7], v[6:7], v[34:35]
	v_add_f64 v[34:35], v[44:45], -v[38:39]
	v_add_f64 v[4:5], v[4:5], v[40:41]
	v_fma_f64 v[40:41], v[53:54], s[14:15], v[49:50]
	v_add_f64 v[22:23], v[36:37], v[22:23]
	v_fma_f64 v[36:37], v[18:19], s[8:9], v[42:43]
	v_fma_f64 v[42:43], v[18:19], s[2:3], v[16:17]
	v_add_f64 v[34:35], v[32:33], v[34:35]
	v_add_f64 v[6:7], v[6:7], v[38:39]
	v_fma_f64 v[38:39], v[53:54], s[12:13], v[49:50]
	v_add_f64 v[4:5], v[4:5], v[46:47]
	v_fma_f64 v[16:17], v[22:23], s[16:17], v[36:37]
	v_fma_f64 v[32:33], v[22:23], s[16:17], v[42:43]
	scratch_load_b32 v22, off, off offset:1360 ; 4-byte Folded Reload
	v_add_f64 v[6:7], v[6:7], v[44:45]
	v_fma_f64 v[18:19], v[51:52], s[2:3], v[38:39]
	v_fma_f64 v[38:39], v[51:52], s[8:9], v[40:41]
	s_delay_alu instid0(VALU_DEP_2) | instskip(NEXT) | instid1(VALU_DEP_2)
	v_fma_f64 v[18:19], v[34:35], s[16:17], v[18:19]
	v_fma_f64 v[34:35], v[34:35], s[16:17], v[38:39]
	s_waitcnt vmcnt(0)
	ds_store_b128 v22, v[4:7]
	ds_store_b128 v22, v[16:19] offset:240
	ds_store_b128 v22, v[8:11] offset:480
	;; [unrolled: 1-line block ×4, first 2 shown]
	v_add_f64 v[4:5], v[26:27], -v[20:21]
	v_add_f64 v[6:7], v[24:25], -v[30:31]
	;; [unrolled: 1-line block ×6, first 2 shown]
	v_add_f64 v[8:9], v[4:5], v[6:7]
	v_add_f64 v[4:5], v[250:251], -v[80:81]
	v_add_f64 v[6:7], v[246:247], -v[28:29]
	s_delay_alu instid0(VALU_DEP_1) | instskip(SKIP_2) | instid1(VALU_DEP_2)
	v_add_f64 v[10:11], v[4:5], v[6:7]
	v_add_f64 v[4:5], v[20:21], v[30:31]
	;; [unrolled: 1-line block ×3, first 2 shown]
	v_fma_f64 v[12:13], v[4:5], -0.5, v[0:1]
	s_delay_alu instid0(VALU_DEP_2) | instskip(NEXT) | instid1(VALU_DEP_2)
	v_fma_f64 v[18:19], v[6:7], -0.5, v[2:3]
	v_fma_f64 v[4:5], v[14:15], s[12:13], v[12:13]
	v_fma_f64 v[12:13], v[14:15], s[14:15], v[12:13]
	s_delay_alu instid0(VALU_DEP_3) | instskip(SKIP_1) | instid1(VALU_DEP_4)
	v_fma_f64 v[6:7], v[22:23], s[14:15], v[18:19]
	v_fma_f64 v[18:19], v[22:23], s[12:13], v[18:19]
	;; [unrolled: 1-line block ×3, first 2 shown]
	s_delay_alu instid0(VALU_DEP_4) | instskip(NEXT) | instid1(VALU_DEP_4)
	v_fma_f64 v[12:13], v[16:17], s[2:3], v[12:13]
	v_fma_f64 v[6:7], v[32:33], s[2:3], v[6:7]
	s_delay_alu instid0(VALU_DEP_4) | instskip(NEXT) | instid1(VALU_DEP_4)
	v_fma_f64 v[18:19], v[32:33], s[8:9], v[18:19]
	v_fma_f64 v[4:5], v[8:9], s[16:17], v[4:5]
	s_delay_alu instid0(VALU_DEP_4) | instskip(SKIP_4) | instid1(VALU_DEP_4)
	v_fma_f64 v[8:9], v[8:9], s[16:17], v[12:13]
	v_add_f64 v[12:13], v[26:27], v[24:25]
	v_fma_f64 v[6:7], v[10:11], s[16:17], v[6:7]
	v_fma_f64 v[10:11], v[10:11], s[16:17], v[18:19]
	v_add_f64 v[18:19], v[250:251], v[246:247]
	v_fma_f64 v[12:13], v[12:13], -0.5, v[0:1]
	v_add_f64 v[0:1], v[0:1], v[20:21]
	v_add_f64 v[20:21], v[20:21], -v[26:27]
	s_delay_alu instid0(VALU_DEP_4) | instskip(SKIP_1) | instid1(VALU_DEP_4)
	v_fma_f64 v[18:19], v[18:19], -0.5, v[2:3]
	v_add_f64 v[2:3], v[2:3], v[80:81]
	v_add_f64 v[0:1], v[0:1], v[26:27]
	v_fma_f64 v[26:27], v[16:17], s[14:15], v[12:13]
	v_fma_f64 v[12:13], v[16:17], s[12:13], v[12:13]
	v_add_f64 v[16:17], v[30:31], -v[24:25]
	v_add_f64 v[2:3], v[2:3], v[250:251]
	v_add_f64 v[0:1], v[0:1], v[24:25]
	v_add_f64 v[24:25], v[80:81], -v[250:251]
	s_delay_alu instid0(VALU_DEP_4)
	v_add_f64 v[16:17], v[20:21], v[16:17]
	v_fma_f64 v[20:21], v[14:15], s[8:9], v[26:27]
	v_fma_f64 v[26:27], v[14:15], s[2:3], v[12:13]
	v_add_f64 v[2:3], v[2:3], v[246:247]
	v_add_f64 v[0:1], v[0:1], v[30:31]
	v_fma_f64 v[30:31], v[32:33], s[12:13], v[18:19]
	v_fma_f64 v[18:19], v[32:33], s[14:15], v[18:19]
	;; [unrolled: 1-line block ×3, first 2 shown]
	scratch_load_b32 v20, off, off offset:1192 ; 4-byte Folded Reload
	v_add_f64 v[2:3], v[2:3], v[28:29]
	v_add_f64 v[28:29], v[28:29], -v[246:247]
	v_fma_f64 v[16:17], v[16:17], s[16:17], v[26:27]
	v_fma_f64 v[14:15], v[22:23], s[2:3], v[30:31]
	v_fma_f64 v[18:19], v[22:23], s[8:9], v[18:19]
	s_delay_alu instid0(VALU_DEP_4) | instskip(NEXT) | instid1(VALU_DEP_1)
	v_add_f64 v[24:25], v[24:25], v[28:29]
	v_fma_f64 v[14:15], v[24:25], s[16:17], v[14:15]
	s_delay_alu instid0(VALU_DEP_3)
	v_fma_f64 v[18:19], v[24:25], s[16:17], v[18:19]
	s_waitcnt vmcnt(0)
	ds_store_b128 v20, v[0:3]
	ds_store_b128 v20, v[12:15] offset:240
	ds_store_b128 v20, v[4:7] offset:480
	;; [unrolled: 1-line block ×4, first 2 shown]
	s_waitcnt lgkmcnt(0)
	s_barrier
	buffer_gl0_inv
	scratch_load_b128 v[6:9], off, off offset:1260 ; 16-byte Folded Reload
	ds_load_b128 v[0:3], v48 offset:6000
	s_waitcnt vmcnt(0) lgkmcnt(0)
	v_mul_f64 v[4:5], v[8:9], v[2:3]
	s_delay_alu instid0(VALU_DEP_1) | instskip(SKIP_1) | instid1(VALU_DEP_1)
	v_fma_f64 v[57:58], v[6:7], v[0:1], v[4:5]
	v_mul_f64 v[0:1], v[8:9], v[0:1]
	v_fma_f64 v[59:60], v[6:7], v[2:3], -v[0:1]
	scratch_load_b128 v[6:9], off, off offset:1276 ; 16-byte Folded Reload
	ds_load_b128 v[0:3], v48 offset:12000
	s_waitcnt vmcnt(0) lgkmcnt(0)
	v_mul_f64 v[4:5], v[8:9], v[2:3]
	s_delay_alu instid0(VALU_DEP_1) | instskip(SKIP_1) | instid1(VALU_DEP_1)
	v_fma_f64 v[61:62], v[6:7], v[0:1], v[4:5]
	v_mul_f64 v[0:1], v[8:9], v[0:1]
	v_fma_f64 v[63:64], v[6:7], v[2:3], -v[0:1]
	;; [unrolled: 8-line block ×5, first 2 shown]
	scratch_load_b128 v[6:9], off, off offset:1380 ; 16-byte Folded Reload
	ds_load_b128 v[0:3], v48 offset:36000
	s_waitcnt vmcnt(0) lgkmcnt(0)
	v_mul_f64 v[4:5], v[8:9], v[2:3]
	s_delay_alu instid0(VALU_DEP_1) | instskip(SKIP_1) | instid1(VALU_DEP_2)
	v_fma_f64 v[77:78], v[6:7], v[0:1], v[4:5]
	v_mul_f64 v[0:1], v[8:9], v[0:1]
	v_add_f64 v[123:124], v[69:70], -v[77:78]
	s_delay_alu instid0(VALU_DEP_2)
	v_fma_f64 v[79:80], v[6:7], v[2:3], -v[0:1]
	scratch_load_b128 v[6:9], off, off offset:1396 ; 16-byte Folded Reload
	ds_load_b128 v[0:3], v48 offset:42000
	v_add_f64 v[119:120], v[71:72], -v[79:80]
	s_waitcnt vmcnt(0) lgkmcnt(0)
	v_mul_f64 v[4:5], v[8:9], v[2:3]
	s_delay_alu instid0(VALU_DEP_1) | instskip(SKIP_1) | instid1(VALU_DEP_2)
	v_fma_f64 v[81:82], v[6:7], v[0:1], v[4:5]
	v_mul_f64 v[0:1], v[8:9], v[0:1]
	v_add_f64 v[111:112], v[73:74], -v[81:82]
	s_delay_alu instid0(VALU_DEP_2)
	v_fma_f64 v[83:84], v[6:7], v[2:3], -v[0:1]
	scratch_load_b128 v[6:9], off, off offset:1412 ; 16-byte Folded Reload
	ds_load_b128 v[0:3], v48 offset:48000
	v_add_f64 v[115:116], v[75:76], -v[83:84]
	;; [unrolled: 11-line block ×3, first 2 shown]
	v_add_f64 v[117:118], v[63:64], -v[87:88]
	s_waitcnt vmcnt(0) lgkmcnt(0)
	v_mul_f64 v[4:5], v[8:9], v[2:3]
	s_delay_alu instid0(VALU_DEP_1) | instskip(SKIP_1) | instid1(VALU_DEP_2)
	v_fma_f64 v[89:90], v[6:7], v[0:1], v[4:5]
	v_mul_f64 v[0:1], v[8:9], v[0:1]
	v_add_f64 v[51:52], v[89:90], -v[81:82]
	s_delay_alu instid0(VALU_DEP_2)
	v_fma_f64 v[91:92], v[6:7], v[2:3], -v[0:1]
	scratch_load_b128 v[6:9], off, off offset:1452 ; 16-byte Folded Reload
	ds_load_b128 v[0:3], v48 offset:8000
	v_add_f64 v[109:110], v[65:66], -v[89:90]
	s_waitcnt lgkmcnt(0)
	v_mul_f64 v[4:5], v[214:215], v[2:3]
	v_add_f64 v[113:114], v[67:68], -v[91:92]
	s_delay_alu instid0(VALU_DEP_2) | instskip(SKIP_1) | instid1(VALU_DEP_1)
	v_fma_f64 v[216:217], v[212:213], v[0:1], v[4:5]
	v_mul_f64 v[0:1], v[214:215], v[0:1]
	v_fma_f64 v[212:213], v[212:213], v[2:3], -v[0:1]
	ds_load_b128 v[0:3], v48 offset:14000
	s_waitcnt lgkmcnt(0)
	v_mul_f64 v[4:5], v[210:211], v[2:3]
	s_delay_alu instid0(VALU_DEP_1) | instskip(SKIP_1) | instid1(VALU_DEP_1)
	v_fma_f64 v[214:215], v[208:209], v[0:1], v[4:5]
	v_mul_f64 v[0:1], v[210:211], v[0:1]
	v_fma_f64 v[208:209], v[208:209], v[2:3], -v[0:1]
	ds_load_b128 v[0:3], v48 offset:20000
	s_waitcnt lgkmcnt(0)
	v_mul_f64 v[4:5], v[206:207], v[2:3]
	s_delay_alu instid0(VALU_DEP_1) | instskip(SKIP_1) | instid1(VALU_DEP_1)
	v_fma_f64 v[210:211], v[204:205], v[0:1], v[4:5]
	v_mul_f64 v[0:1], v[206:207], v[0:1]
	v_fma_f64 v[204:205], v[204:205], v[2:3], -v[0:1]
	ds_load_b128 v[0:3], v48 offset:26000
	s_waitcnt vmcnt(0) lgkmcnt(0)
	v_mul_f64 v[4:5], v[8:9], v[2:3]
	s_delay_alu instid0(VALU_DEP_1) | instskip(SKIP_1) | instid1(VALU_DEP_1)
	v_fma_f64 v[206:207], v[6:7], v[0:1], v[4:5]
	v_mul_f64 v[0:1], v[8:9], v[0:1]
	v_fma_f64 v[200:201], v[6:7], v[2:3], -v[0:1]
	ds_load_b128 v[0:3], v48 offset:32000
	scratch_load_b128 v[6:9], off, off offset:1472 ; 16-byte Folded Reload
	s_waitcnt lgkmcnt(0)
	v_mul_f64 v[4:5], v[198:199], v[2:3]
	s_delay_alu instid0(VALU_DEP_1) | instskip(SKIP_1) | instid1(VALU_DEP_1)
	v_fma_f64 v[202:203], v[196:197], v[0:1], v[4:5]
	v_mul_f64 v[0:1], v[198:199], v[0:1]
	v_fma_f64 v[196:197], v[196:197], v[2:3], -v[0:1]
	ds_load_b128 v[0:3], v48 offset:38000
	s_waitcnt lgkmcnt(0)
	v_mul_f64 v[4:5], v[194:195], v[2:3]
	s_delay_alu instid0(VALU_DEP_1) | instskip(SKIP_1) | instid1(VALU_DEP_1)
	v_fma_f64 v[198:199], v[192:193], v[0:1], v[4:5]
	v_mul_f64 v[0:1], v[194:195], v[0:1]
	v_fma_f64 v[192:193], v[192:193], v[2:3], -v[0:1]
	ds_load_b128 v[0:3], v48 offset:44000
	;; [unrolled: 7-line block ×5, first 2 shown]
	s_waitcnt vmcnt(0) lgkmcnt(0)
	v_mul_f64 v[4:5], v[8:9], v[2:3]
	s_delay_alu instid0(VALU_DEP_1) | instskip(SKIP_1) | instid1(VALU_DEP_1)
	v_fma_f64 v[12:13], v[6:7], v[0:1], v[4:5]
	v_mul_f64 v[0:1], v[8:9], v[0:1]
	v_fma_f64 v[14:15], v[6:7], v[2:3], -v[0:1]
	scratch_load_b128 v[6:9], off, off offset:1488 ; 16-byte Folded Reload
	ds_load_b128 v[0:3], v48 offset:16000
	s_waitcnt vmcnt(0) lgkmcnt(0)
	v_mul_f64 v[4:5], v[8:9], v[2:3]
	s_delay_alu instid0(VALU_DEP_1) | instskip(SKIP_1) | instid1(VALU_DEP_1)
	v_fma_f64 v[18:19], v[6:7], v[0:1], v[4:5]
	v_mul_f64 v[0:1], v[8:9], v[0:1]
	v_fma_f64 v[20:21], v[6:7], v[2:3], -v[0:1]
	scratch_load_b128 v[6:9], off, off offset:1504 ; 16-byte Folded Reload
	ds_load_b128 v[0:3], v48 offset:22000
	;; [unrolled: 8-line block ×8, first 2 shown]
	s_waitcnt vmcnt(0) lgkmcnt(0)
	v_mul_f64 v[4:5], v[8:9], v[2:3]
	s_delay_alu instid0(VALU_DEP_1) | instskip(SKIP_2) | instid1(VALU_DEP_2)
	v_fma_f64 v[46:47], v[6:7], v[0:1], v[4:5]
	v_mul_f64 v[0:1], v[8:9], v[0:1]
	v_add_f64 v[4:5], v[69:70], v[77:78]
	v_fma_f64 v[40:41], v[6:7], v[2:3], -v[0:1]
	ds_load_b128 v[0:3], v48
	v_add_f64 v[6:7], v[59:60], v[67:68]
	s_waitcnt lgkmcnt(0)
	v_fma_f64 v[93:94], v[4:5], -0.5, v[0:1]
	v_add_f64 v[4:5], v[61:62], v[85:86]
	s_delay_alu instid0(VALU_DEP_3) | instskip(NEXT) | instid1(VALU_DEP_2)
	v_add_f64 v[6:7], v[6:7], v[75:76]
	v_fma_f64 v[95:96], v[4:5], -0.5, v[0:1]
	v_add_f64 v[4:5], v[71:72], v[79:80]
	v_add_f64 v[0:1], v[0:1], v[61:62]
	s_delay_alu instid0(VALU_DEP_4) | instskip(NEXT) | instid1(VALU_DEP_3)
	v_add_f64 v[6:7], v[6:7], v[83:84]
	v_fma_f64 v[97:98], v[4:5], -0.5, v[2:3]
	v_add_f64 v[4:5], v[63:64], v[87:88]
	s_delay_alu instid0(VALU_DEP_4) | instskip(NEXT) | instid1(VALU_DEP_4)
	v_add_f64 v[0:1], v[0:1], v[69:70]
	v_add_f64 v[10:11], v[6:7], v[91:92]
	s_delay_alu instid0(VALU_DEP_3) | instskip(SKIP_3) | instid1(VALU_DEP_3)
	v_fma_f64 v[99:100], v[4:5], -0.5, v[2:3]
	v_add_f64 v[2:3], v[2:3], v[63:64]
	v_add_f64 v[4:5], v[57:58], v[65:66]
	;; [unrolled: 1-line block ×4, first 2 shown]
	s_delay_alu instid0(VALU_DEP_3) | instskip(NEXT) | instid1(VALU_DEP_3)
	v_add_f64 v[4:5], v[4:5], v[73:74]
	v_add_f64 v[0:1], v[0:1], v[85:86]
	s_delay_alu instid0(VALU_DEP_3) | instskip(NEXT) | instid1(VALU_DEP_3)
	v_add_f64 v[2:3], v[2:3], v[79:80]
	v_add_f64 v[4:5], v[4:5], v[81:82]
	s_delay_alu instid0(VALU_DEP_2) | instskip(NEXT) | instid1(VALU_DEP_2)
	v_add_f64 v[2:3], v[2:3], v[87:88]
	v_add_f64 v[8:9], v[4:5], v[89:90]
	s_delay_alu instid0(VALU_DEP_2) | instskip(NEXT) | instid1(VALU_DEP_2)
	v_add_f64 v[6:7], v[2:3], v[10:11]
	v_add_f64 v[4:5], v[0:1], v[8:9]
	v_add_f64 v[8:9], v[0:1], -v[8:9]
	v_add_f64 v[10:11], v[2:3], -v[10:11]
	;; [unrolled: 1-line block ×7, first 2 shown]
	s_delay_alu instid0(VALU_DEP_4)
	v_add_f64 v[0:1], v[0:1], v[2:3]
	v_add_f64 v[2:3], v[63:64], -v[71:72]
	v_add_f64 v[63:64], v[71:72], -v[63:64]
	;; [unrolled: 1-line block ×4, first 2 shown]
	v_add_f64 v[69:70], v[61:62], v[69:70]
	v_add_f64 v[2:3], v[2:3], v[49:50]
	v_add_f64 v[49:50], v[65:66], -v[73:74]
	v_add_f64 v[71:72], v[63:64], v[71:72]
	s_delay_alu instid0(VALU_DEP_2) | instskip(SKIP_2) | instid1(VALU_DEP_1)
	v_add_f64 v[101:102], v[49:50], v[51:52]
	v_add_f64 v[49:50], v[67:68], -v[75:76]
	v_add_f64 v[51:52], v[91:92], -v[83:84]
	v_add_f64 v[103:104], v[49:50], v[51:52]
	v_add_f64 v[49:50], v[73:74], v[81:82]
	v_add_f64 v[73:74], v[73:74], -v[65:66]
	v_add_f64 v[65:66], v[65:66], v[89:90]
	v_add_f64 v[89:90], v[210:211], -v[186:187]
	s_delay_alu instid0(VALU_DEP_4)
	v_fma_f64 v[105:106], v[49:50], -0.5, v[57:58]
	v_add_f64 v[49:50], v[75:76], v[83:84]
	v_add_f64 v[75:76], v[75:76], -v[67:68]
	v_add_f64 v[67:68], v[67:68], v[91:92]
	v_fma_f64 v[65:66], v[65:66], -0.5, v[57:58]
	v_add_f64 v[73:74], v[73:74], v[77:78]
	v_add_f64 v[91:92], v[202:203], -v[194:195]
	v_fma_f64 v[51:52], v[113:114], s[14:15], v[105:106]
	v_fma_f64 v[107:108], v[49:50], -0.5, v[59:60]
	v_add_f64 v[75:76], v[75:76], v[79:80]
	v_fma_f64 v[67:68], v[67:68], -0.5, v[59:60]
	v_fma_f64 v[59:60], v[115:116], s[12:13], v[65:66]
	v_fma_f64 v[65:66], v[115:116], s[14:15], v[65:66]
	;; [unrolled: 1-line block ×16, first 2 shown]
	s_delay_alu instid0(VALU_DEP_4) | instskip(NEXT) | instid1(VALU_DEP_3)
	v_fma_f64 v[67:68], v[75:76], s[16:17], v[67:68]
	v_mul_f64 v[53:54], v[49:50], s[8:9]
	v_mul_f64 v[49:50], v[49:50], s[22:23]
	s_delay_alu instid0(VALU_DEP_4)
	v_mul_f64 v[61:62], v[57:58], s[14:15]
	v_mul_f64 v[57:58], v[57:58], s[16:17]
	;; [unrolled: 1-line block ×4, first 2 shown]
	v_fma_f64 v[53:54], v[51:52], s[22:23], v[53:54]
	v_fma_f64 v[55:56], v[51:52], s[2:3], v[49:50]
	;; [unrolled: 1-line block ×12, first 2 shown]
	s_delay_alu instid0(VALU_DEP_4) | instskip(NEXT) | instid1(VALU_DEP_4)
	v_fma_f64 v[49:50], v[119:120], s[8:9], v[49:50]
	v_fma_f64 v[51:52], v[123:124], s[2:3], v[51:52]
	s_delay_alu instid0(VALU_DEP_4) | instskip(NEXT) | instid1(VALU_DEP_4)
	v_fma_f64 v[77:78], v[69:70], s[16:17], v[57:58]
	v_fma_f64 v[79:80], v[71:72], s[16:17], v[59:60]
	;; [unrolled: 3-line block ×3, first 2 shown]
	s_delay_alu instid0(VALU_DEP_4)
	v_add_f64 v[57:58], v[77:78], v[61:62]
	v_add_f64 v[61:62], v[77:78], -v[61:62]
	v_fma_f64 v[77:78], v[119:120], s[14:15], v[95:96]
	v_add_f64 v[59:60], v[79:80], v[63:64]
	v_add_f64 v[63:64], v[79:80], -v[63:64]
	v_fma_f64 v[79:80], v[113:114], s[12:13], v[105:106]
	v_add_f64 v[49:50], v[125:126], v[53:54]
	v_add_f64 v[51:52], v[127:128], v[55:56]
	v_add_f64 v[53:54], v[125:126], -v[53:54]
	v_add_f64 v[55:56], v[127:128], -v[55:56]
	;; [unrolled: 1-line block ×4, first 2 shown]
	v_fma_f64 v[77:78], v[117:118], s[2:3], v[77:78]
	v_fma_f64 v[79:80], v[115:116], s[2:3], v[79:80]
	s_delay_alu instid0(VALU_DEP_2) | instskip(SKIP_2) | instid1(VALU_DEP_3)
	v_fma_f64 v[69:70], v[69:70], s[16:17], v[77:78]
	v_fma_f64 v[77:78], v[123:124], s[12:13], v[99:100]
	v_add_f64 v[99:100], v[200:201], -v[192:193]
	v_add_f64 v[65:66], v[69:70], v[73:74]
	s_delay_alu instid0(VALU_DEP_3)
	v_fma_f64 v[77:78], v[121:122], s[8:9], v[77:78]
	v_add_f64 v[69:70], v[69:70], -v[73:74]
	v_fma_f64 v[73:74], v[109:110], s[14:15], v[107:108]
	v_add_f64 v[109:110], v[204:205], v[180:181]
	v_add_f64 v[107:108], v[196:197], -v[204:205]
	v_fma_f64 v[71:72], v[71:72], s[16:17], v[77:78]
	v_fma_f64 v[77:78], v[121:122], s[14:15], v[97:98]
	;; [unrolled: 1-line block ×3, first 2 shown]
	v_add_f64 v[97:98], v[208:209], -v[184:185]
	v_fma_f64 v[109:110], v[109:110], -0.5, v[212:213]
	v_add_f64 v[111:112], v[188:189], -v[180:181]
	v_add_f64 v[67:68], v[71:72], v[75:76]
	v_add_f64 v[71:72], v[71:72], -v[75:76]
	v_fma_f64 v[75:76], v[117:118], s[12:13], v[93:94]
	v_fma_f64 v[77:78], v[123:124], s[8:9], v[77:78]
	;; [unrolled: 1-line block ×3, first 2 shown]
	v_add_f64 v[93:94], v[204:205], -v[180:181]
	v_add_f64 v[103:104], v[206:207], -v[198:199]
	v_fma_f64 v[75:76], v[119:120], s[2:3], v[75:76]
	v_fma_f64 v[2:3], v[2:3], s[16:17], v[77:78]
	v_mul_f64 v[77:78], v[73:74], s[8:9]
	v_mul_f64 v[73:74], v[73:74], s[26:27]
	s_delay_alu instid0(VALU_DEP_4) | instskip(SKIP_2) | instid1(VALU_DEP_2)
	v_fma_f64 v[0:1], v[0:1], s[16:17], v[75:76]
	v_fma_f64 v[75:76], v[101:102], s[16:17], v[79:80]
	v_add_f64 v[101:102], v[214:215], -v[190:191]
	v_fma_f64 v[77:78], v[75:76], s[26:27], v[77:78]
	v_fma_f64 v[79:80], v[75:76], s[2:3], v[73:74]
	s_delay_alu instid0(VALU_DEP_2) | instskip(NEXT) | instid1(VALU_DEP_2)
	v_add_f64 v[73:74], v[0:1], v[77:78]
	v_add_f64 v[75:76], v[2:3], v[79:80]
	v_add_f64 v[77:78], v[0:1], -v[77:78]
	v_add_f64 v[79:80], v[2:3], -v[79:80]
	ds_load_b128 v[81:84], v48 offset:2000
	ds_load_b128 v[0:3], v48 offset:4000
	s_waitcnt lgkmcnt(0)
	s_barrier
	buffer_gl0_inv
	ds_store_b128 v177, v[4:7]
	ds_store_b128 v177, v[49:52] offset:1200
	ds_store_b128 v177, v[57:60] offset:2400
	;; [unrolled: 1-line block ×9, first 2 shown]
	v_add_f64 v[4:5], v[206:207], v[198:199]
	v_add_f64 v[6:7], v[83:84], v[208:209]
	;; [unrolled: 1-line block ×5, first 2 shown]
	v_add_f64 v[69:70], v[202:203], -v[210:211]
	v_add_f64 v[61:62], v[200:201], -v[208:209]
	;; [unrolled: 1-line block ×3, first 2 shown]
	v_fma_f64 v[73:74], v[4:5], -0.5, v[81:82]
	v_add_f64 v[4:5], v[214:215], v[190:191]
	v_add_f64 v[6:7], v[6:7], v[200:201]
	;; [unrolled: 1-line block ×4, first 2 shown]
	v_fma_f64 v[71:72], v[71:72], -0.5, v[216:217]
	v_add_f64 v[69:70], v[69:70], v[105:106]
	v_add_f64 v[105:106], v[107:108], v[111:112]
	;; [unrolled: 1-line block ×3, first 2 shown]
	v_fma_f64 v[65:66], v[4:5], -0.5, v[81:82]
	v_add_f64 v[4:5], v[200:201], v[192:193]
	v_add_f64 v[6:7], v[6:7], v[192:193]
	;; [unrolled: 1-line block ×4, first 2 shown]
	s_delay_alu instid0(VALU_DEP_4) | instskip(SKIP_4) | instid1(VALU_DEP_4)
	v_fma_f64 v[75:76], v[4:5], -0.5, v[83:84]
	v_add_f64 v[4:5], v[208:209], v[184:185]
	v_add_f64 v[51:52], v[6:7], v[184:185]
	v_add_f64 v[8:9], v[8:9], v[186:187]
	v_add_f64 v[10:11], v[10:11], v[180:181]
	v_fma_f64 v[67:68], v[4:5], -0.5, v[83:84]
	v_add_f64 v[4:5], v[81:82], v[214:215]
	s_delay_alu instid0(VALU_DEP_3) | instskip(SKIP_2) | instid1(VALU_DEP_4)
	v_add_f64 v[6:7], v[51:52], v[10:11]
	v_add_f64 v[10:11], v[51:52], -v[10:11]
	v_add_f64 v[51:52], v[190:191], -v[198:199]
	v_add_f64 v[4:5], v[4:5], v[206:207]
	s_delay_alu instid0(VALU_DEP_1) | instskip(NEXT) | instid1(VALU_DEP_1)
	v_add_f64 v[4:5], v[4:5], v[198:199]
	v_add_f64 v[49:50], v[4:5], v[190:191]
	s_delay_alu instid0(VALU_DEP_1) | instskip(SKIP_2) | instid1(VALU_DEP_1)
	v_add_f64 v[4:5], v[49:50], v[8:9]
	v_add_f64 v[8:9], v[49:50], -v[8:9]
	v_add_f64 v[49:50], v[214:215], -v[206:207]
	v_add_f64 v[77:78], v[49:50], v[51:52]
	v_add_f64 v[49:50], v[208:209], -v[200:201]
	v_add_f64 v[51:52], v[184:185], -v[192:193]
	s_delay_alu instid0(VALU_DEP_1) | instskip(SKIP_2) | instid1(VALU_DEP_1)
	v_add_f64 v[79:80], v[49:50], v[51:52]
	v_add_f64 v[49:50], v[210:211], -v[202:203]
	v_add_f64 v[51:52], v[186:187], -v[194:195]
	v_add_f64 v[81:82], v[49:50], v[51:52]
	v_add_f64 v[49:50], v[204:205], -v[196:197]
	v_add_f64 v[51:52], v[180:181], -v[188:189]
	s_delay_alu instid0(VALU_DEP_1) | instskip(SKIP_1) | instid1(VALU_DEP_1)
	v_add_f64 v[83:84], v[49:50], v[51:52]
	v_add_f64 v[49:50], v[202:203], v[194:195]
	v_fma_f64 v[85:86], v[49:50], -0.5, v[216:217]
	v_add_f64 v[49:50], v[196:197], v[188:189]
	s_delay_alu instid0(VALU_DEP_2) | instskip(NEXT) | instid1(VALU_DEP_2)
	v_fma_f64 v[51:52], v[93:94], s[14:15], v[85:86]
	v_fma_f64 v[87:88], v[49:50], -0.5, v[212:213]
	v_fma_f64 v[85:86], v[93:94], s[12:13], v[85:86]
	s_delay_alu instid0(VALU_DEP_3) | instskip(NEXT) | instid1(VALU_DEP_3)
	v_fma_f64 v[51:52], v[95:96], s[8:9], v[51:52]
	v_fma_f64 v[49:50], v[89:90], s[12:13], v[87:88]
	;; [unrolled: 1-line block ×3, first 2 shown]
	s_delay_alu instid0(VALU_DEP_4) | instskip(NEXT) | instid1(VALU_DEP_4)
	v_fma_f64 v[85:86], v[95:96], s[2:3], v[85:86]
	v_fma_f64 v[51:52], v[81:82], s[16:17], v[51:52]
	s_delay_alu instid0(VALU_DEP_4) | instskip(NEXT) | instid1(VALU_DEP_4)
	v_fma_f64 v[49:50], v[91:92], s[2:3], v[49:50]
	v_fma_f64 v[87:88], v[91:92], s[8:9], v[87:88]
	s_delay_alu instid0(VALU_DEP_2) | instskip(NEXT) | instid1(VALU_DEP_2)
	v_fma_f64 v[49:50], v[83:84], s[16:17], v[49:50]
	v_fma_f64 v[83:84], v[83:84], s[16:17], v[87:88]
	v_add_f64 v[87:88], v[24:25], -v[34:35]
	s_delay_alu instid0(VALU_DEP_3) | instskip(SKIP_1) | instid1(VALU_DEP_2)
	v_mul_f64 v[53:54], v[49:50], s[8:9]
	v_mul_f64 v[49:50], v[49:50], s[22:23]
	v_fma_f64 v[53:54], v[51:52], s[22:23], v[53:54]
	s_delay_alu instid0(VALU_DEP_2) | instskip(SKIP_4) | instid1(VALU_DEP_4)
	v_fma_f64 v[55:56], v[51:52], s[2:3], v[49:50]
	v_fma_f64 v[49:50], v[97:98], s[14:15], v[73:74]
	;; [unrolled: 1-line block ×6, first 2 shown]
	s_delay_alu instid0(VALU_DEP_4) | instskip(NEXT) | instid1(VALU_DEP_4)
	v_fma_f64 v[51:52], v[103:104], s[2:3], v[51:52]
	v_fma_f64 v[73:74], v[99:100], s[2:3], v[73:74]
	s_delay_alu instid0(VALU_DEP_4) | instskip(NEXT) | instid1(VALU_DEP_4)
	v_fma_f64 v[75:76], v[103:104], s[8:9], v[75:76]
	v_fma_f64 v[57:58], v[77:78], s[16:17], v[49:50]
	;; [unrolled: 3-line block ×3, first 2 shown]
	s_delay_alu instid0(VALU_DEP_4)
	v_fma_f64 v[79:80], v[79:80], s[16:17], v[75:76]
	v_fma_f64 v[73:74], v[81:82], s[16:17], v[85:86]
	v_mul_f64 v[75:76], v[83:84], s[8:9]
	v_mul_f64 v[81:82], v[83:84], s[26:27]
	v_add_f64 v[85:86], v[18:19], -v[42:43]
	v_add_f64 v[49:50], v[57:58], v[53:54]
	v_add_f64 v[51:52], v[59:60], v[55:56]
	v_add_f64 v[53:54], v[57:58], -v[53:54]
	v_add_f64 v[55:56], v[59:60], -v[55:56]
	;; [unrolled: 1-line block ×4, first 2 shown]
	v_fma_f64 v[83:84], v[73:74], s[26:27], v[75:76]
	v_fma_f64 v[81:82], v[73:74], s[2:3], v[81:82]
	s_delay_alu instid0(VALU_DEP_3)
	v_add_f64 v[113:114], v[57:58], v[59:60]
	v_fma_f64 v[57:58], v[91:92], s[14:15], v[109:110]
	v_fma_f64 v[59:60], v[95:96], s[12:13], v[71:72]
	v_add_f64 v[73:74], v[77:78], v[83:84]
	v_add_f64 v[75:76], v[79:80], v[81:82]
	v_add_f64 v[77:78], v[77:78], -v[83:84]
	v_add_f64 v[79:80], v[79:80], -v[81:82]
	v_add_f64 v[81:82], v[20:21], -v[44:45]
	v_add_f64 v[83:84], v[26:27], -v[36:37]
	v_fma_f64 v[57:58], v[89:90], s[2:3], v[57:58]
	v_fma_f64 v[59:60], v[93:94], s[8:9], v[59:60]
	s_delay_alu instid0(VALU_DEP_2) | instskip(NEXT) | instid1(VALU_DEP_2)
	v_fma_f64 v[57:58], v[105:106], s[16:17], v[57:58]
	v_fma_f64 v[59:60], v[69:70], s[16:17], v[59:60]
	s_delay_alu instid0(VALU_DEP_2) | instskip(SKIP_1) | instid1(VALU_DEP_2)
	v_mul_f64 v[61:62], v[57:58], s[14:15]
	v_mul_f64 v[57:58], v[57:58], s[16:17]
	v_fma_f64 v[61:62], v[59:60], s[16:17], v[61:62]
	s_delay_alu instid0(VALU_DEP_2) | instskip(SKIP_3) | instid1(VALU_DEP_3)
	v_fma_f64 v[63:64], v[59:60], s[12:13], v[57:58]
	v_fma_f64 v[57:58], v[99:100], s[12:13], v[65:66]
	;; [unrolled: 1-line block ×5, first 2 shown]
	s_delay_alu instid0(VALU_DEP_3) | instskip(NEXT) | instid1(VALU_DEP_3)
	v_fma_f64 v[65:66], v[97:98], s[2:3], v[65:66]
	v_fma_f64 v[59:60], v[101:102], s[2:3], v[59:60]
	s_delay_alu instid0(VALU_DEP_3) | instskip(NEXT) | instid1(VALU_DEP_2)
	v_fma_f64 v[107:108], v[113:114], s[16:17], v[57:58]
	v_fma_f64 v[111:112], v[115:116], s[16:17], v[59:60]
	s_delay_alu instid0(VALU_DEP_2)
	v_add_f64 v[57:58], v[107:108], v[61:62]
	v_add_f64 v[61:62], v[107:108], -v[61:62]
	v_fma_f64 v[107:108], v[113:114], s[16:17], v[65:66]
	v_fma_f64 v[65:66], v[103:104], s[12:13], v[67:68]
	v_add_f64 v[59:60], v[111:112], v[63:64]
	v_add_f64 v[63:64], v[111:112], -v[63:64]
	v_fma_f64 v[67:68], v[95:96], s[14:15], v[71:72]
	s_delay_alu instid0(VALU_DEP_4) | instskip(NEXT) | instid1(VALU_DEP_2)
	v_fma_f64 v[65:66], v[101:102], s[8:9], v[65:66]
	v_fma_f64 v[67:68], v[93:94], s[2:3], v[67:68]
	s_delay_alu instid0(VALU_DEP_2) | instskip(SKIP_1) | instid1(VALU_DEP_3)
	v_fma_f64 v[111:112], v[115:116], s[16:17], v[65:66]
	v_fma_f64 v[65:66], v[91:92], s[12:13], v[109:110]
	;; [unrolled: 1-line block ×3, first 2 shown]
	s_delay_alu instid0(VALU_DEP_2) | instskip(NEXT) | instid1(VALU_DEP_1)
	v_fma_f64 v[65:66], v[89:90], s[8:9], v[65:66]
	v_fma_f64 v[65:66], v[105:106], s[16:17], v[65:66]
	s_delay_alu instid0(VALU_DEP_1) | instskip(SKIP_1) | instid1(VALU_DEP_2)
	v_mul_f64 v[69:70], v[65:66], s[14:15]
	v_mul_f64 v[65:66], v[65:66], s[24:25]
	v_fma_f64 v[69:70], v[67:68], s[24:25], v[69:70]
	s_delay_alu instid0(VALU_DEP_2) | instskip(NEXT) | instid1(VALU_DEP_2)
	v_fma_f64 v[71:72], v[67:68], s[12:13], v[65:66]
	v_add_f64 v[65:66], v[107:108], v[69:70]
	s_delay_alu instid0(VALU_DEP_2)
	v_add_f64 v[67:68], v[111:112], v[71:72]
	v_add_f64 v[69:70], v[107:108], -v[69:70]
	v_add_f64 v[71:72], v[111:112], -v[71:72]
	ds_store_b128 v155, v[4:7]
	ds_store_b128 v155, v[49:52] offset:1200
	ds_store_b128 v155, v[57:60] offset:2400
	;; [unrolled: 1-line block ×9, first 2 shown]
	v_add_f64 v[4:5], v[24:25], v[34:35]
	v_add_f64 v[6:7], v[14:15], v[16:17]
	v_add_f64 v[77:78], v[16:17], -v[40:41]
	v_add_f64 v[79:80], v[28:29], -v[32:33]
	;; [unrolled: 1-line block ×4, first 2 shown]
	v_fma_f64 v[53:54], v[4:5], -0.5, v[0:1]
	v_add_f64 v[4:5], v[18:19], v[42:43]
	v_add_f64 v[6:7], v[6:7], v[28:29]
	s_delay_alu instid0(VALU_DEP_2) | instskip(SKIP_2) | instid1(VALU_DEP_4)
	v_fma_f64 v[55:56], v[4:5], -0.5, v[0:1]
	v_add_f64 v[4:5], v[26:27], v[36:37]
	v_add_f64 v[0:1], v[0:1], v[18:19]
	v_add_f64 v[6:7], v[6:7], v[32:33]
	s_delay_alu instid0(VALU_DEP_3) | instskip(SKIP_1) | instid1(VALU_DEP_4)
	v_fma_f64 v[57:58], v[4:5], -0.5, v[2:3]
	v_add_f64 v[4:5], v[20:21], v[44:45]
	v_add_f64 v[0:1], v[0:1], v[24:25]
	s_delay_alu instid0(VALU_DEP_4) | instskip(NEXT) | instid1(VALU_DEP_3)
	v_add_f64 v[6:7], v[6:7], v[40:41]
	v_fma_f64 v[59:60], v[4:5], -0.5, v[2:3]
	v_add_f64 v[2:3], v[2:3], v[20:21]
	v_add_f64 v[4:5], v[12:13], v[22:23]
	;; [unrolled: 1-line block ×3, first 2 shown]
	s_delay_alu instid0(VALU_DEP_3) | instskip(NEXT) | instid1(VALU_DEP_3)
	v_add_f64 v[2:3], v[2:3], v[26:27]
	v_add_f64 v[4:5], v[4:5], v[30:31]
	s_delay_alu instid0(VALU_DEP_3) | instskip(NEXT) | instid1(VALU_DEP_3)
	v_add_f64 v[8:9], v[0:1], v[42:43]
	v_add_f64 v[2:3], v[2:3], v[36:37]
	s_delay_alu instid0(VALU_DEP_3) | instskip(NEXT) | instid1(VALU_DEP_2)
	v_add_f64 v[4:5], v[4:5], v[38:39]
	v_add_f64 v[10:11], v[2:3], v[44:45]
	s_delay_alu instid0(VALU_DEP_2) | instskip(NEXT) | instid1(VALU_DEP_2)
	v_add_f64 v[4:5], v[4:5], v[46:47]
	v_add_f64 v[2:3], v[10:11], v[6:7]
	s_delay_alu instid0(VALU_DEP_2)
	v_add_f64 v[0:1], v[8:9], v[4:5]
	v_add_f64 v[4:5], v[8:9], -v[4:5]
	v_add_f64 v[6:7], v[10:11], -v[6:7]
	;; [unrolled: 1-line block ×7, first 2 shown]
	s_delay_alu instid0(VALU_DEP_4)
	v_add_f64 v[61:62], v[8:9], v[10:11]
	v_add_f64 v[8:9], v[20:21], -v[26:27]
	v_add_f64 v[10:11], v[44:45], -v[36:37]
	;; [unrolled: 1-line block ×4, first 2 shown]
	v_add_f64 v[24:25], v[18:19], v[24:25]
	s_delay_alu instid0(VALU_DEP_4) | instskip(SKIP_3) | instid1(VALU_DEP_2)
	v_add_f64 v[63:64], v[8:9], v[10:11]
	v_add_f64 v[8:9], v[22:23], -v[30:31]
	v_add_f64 v[10:11], v[46:47], -v[38:39]
	v_add_f64 v[20:21], v[20:21], v[26:27]
	v_add_f64 v[65:66], v[8:9], v[10:11]
	v_add_f64 v[8:9], v[16:17], -v[28:29]
	v_add_f64 v[10:11], v[40:41], -v[32:33]
	s_delay_alu instid0(VALU_DEP_1) | instskip(SKIP_3) | instid1(VALU_DEP_3)
	v_add_f64 v[67:68], v[8:9], v[10:11]
	v_add_f64 v[8:9], v[30:31], v[38:39]
	v_add_f64 v[30:31], v[30:31], -v[22:23]
	v_add_f64 v[22:23], v[22:23], v[46:47]
	v_fma_f64 v[69:70], v[8:9], -0.5, v[12:13]
	v_add_f64 v[8:9], v[28:29], v[32:33]
	v_add_f64 v[28:29], v[28:29], -v[16:17]
	v_add_f64 v[16:17], v[16:17], v[40:41]
	v_add_f64 v[32:33], v[32:33], -v[40:41]
	v_fma_f64 v[22:23], v[22:23], -0.5, v[12:13]
	v_add_f64 v[26:27], v[30:31], v[34:35]
	v_fma_f64 v[10:11], v[77:78], s[14:15], v[69:70]
	v_fma_f64 v[71:72], v[8:9], -0.5, v[14:15]
	v_fma_f64 v[34:35], v[77:78], s[12:13], v[69:70]
	v_fma_f64 v[36:37], v[16:17], -0.5, v[14:15]
	v_add_f64 v[28:29], v[28:29], v[32:33]
	v_fma_f64 v[14:15], v[79:80], s[12:13], v[22:23]
	v_fma_f64 v[22:23], v[79:80], s[14:15], v[22:23]
	v_fma_f64 v[10:11], v[79:80], s[8:9], v[10:11]
	v_fma_f64 v[8:9], v[73:74], s[12:13], v[71:72]
	v_fma_f64 v[34:35], v[79:80], s[2:3], v[34:35]
	v_fma_f64 v[12:13], v[75:76], s[14:15], v[36:37]
	v_fma_f64 v[14:15], v[77:78], s[8:9], v[14:15]
	v_fma_f64 v[22:23], v[77:78], s[2:3], v[22:23]
	v_fma_f64 v[10:11], v[65:66], s[16:17], v[10:11]
	v_fma_f64 v[8:9], v[75:76], s[2:3], v[8:9]
	v_fma_f64 v[12:13], v[73:74], s[2:3], v[12:13]
	v_fma_f64 v[14:15], v[26:27], s[16:17], v[14:15]
	v_fma_f64 v[22:23], v[26:27], s[16:17], v[22:23]
	s_delay_alu instid0(VALU_DEP_4) | instskip(NEXT) | instid1(VALU_DEP_4)
	v_fma_f64 v[8:9], v[67:68], s[16:17], v[8:9]
	v_fma_f64 v[12:13], v[28:29], s[16:17], v[12:13]
	s_delay_alu instid0(VALU_DEP_2) | instskip(SKIP_1) | instid1(VALU_DEP_3)
	v_mul_f64 v[49:50], v[8:9], s[8:9]
	v_mul_f64 v[8:9], v[8:9], s[22:23]
	v_mul_f64 v[16:17], v[12:13], s[14:15]
	v_mul_f64 v[12:13], v[12:13], s[16:17]
	s_delay_alu instid0(VALU_DEP_4) | instskip(NEXT) | instid1(VALU_DEP_4)
	v_fma_f64 v[49:50], v[10:11], s[22:23], v[49:50]
	v_fma_f64 v[51:52], v[10:11], s[2:3], v[8:9]
	s_delay_alu instid0(VALU_DEP_4) | instskip(NEXT) | instid1(VALU_DEP_4)
	v_fma_f64 v[16:17], v[14:15], s[16:17], v[16:17]
	v_fma_f64 v[18:19], v[14:15], s[12:13], v[12:13]
	v_fma_f64 v[12:13], v[83:84], s[12:13], v[55:56]
	v_fma_f64 v[14:15], v[87:88], s[14:15], v[59:60]
	v_fma_f64 v[8:9], v[81:82], s[14:15], v[53:54]
	v_fma_f64 v[10:11], v[85:86], s[12:13], v[57:58]
	s_delay_alu instid0(VALU_DEP_4) | instskip(NEXT) | instid1(VALU_DEP_4)
	v_fma_f64 v[12:13], v[81:82], s[8:9], v[12:13]
	v_fma_f64 v[14:15], v[85:86], s[2:3], v[14:15]
	s_delay_alu instid0(VALU_DEP_4) | instskip(NEXT) | instid1(VALU_DEP_4)
	v_fma_f64 v[8:9], v[83:84], s[8:9], v[8:9]
	v_fma_f64 v[10:11], v[87:88], s[2:3], v[10:11]
	;; [unrolled: 3-line block ×4, first 2 shown]
	s_delay_alu instid0(VALU_DEP_4)
	v_add_f64 v[12:13], v[30:31], v[16:17]
	v_add_f64 v[16:17], v[30:31], -v[16:17]
	v_fma_f64 v[30:31], v[83:84], s[14:15], v[55:56]
	v_add_f64 v[14:15], v[32:33], v[18:19]
	v_add_f64 v[18:19], v[32:33], -v[18:19]
	v_fma_f64 v[32:33], v[85:86], s[14:15], v[57:58]
	v_add_f64 v[8:9], v[89:90], v[49:50]
	v_add_f64 v[10:11], v[91:92], v[51:52]
	v_add_f64 v[49:50], v[89:90], -v[49:50]
	v_add_f64 v[51:52], v[91:92], -v[51:52]
	v_fma_f64 v[30:31], v[81:82], s[2:3], v[30:31]
	v_fma_f64 v[32:33], v[87:88], s[8:9], v[32:33]
	s_delay_alu instid0(VALU_DEP_2) | instskip(SKIP_1) | instid1(VALU_DEP_3)
	v_fma_f64 v[24:25], v[24:25], s[16:17], v[30:31]
	v_fma_f64 v[30:31], v[87:88], s[12:13], v[59:60]
	;; [unrolled: 1-line block ×3, first 2 shown]
	s_delay_alu instid0(VALU_DEP_2) | instskip(NEXT) | instid1(VALU_DEP_1)
	v_fma_f64 v[30:31], v[85:86], s[8:9], v[30:31]
	v_fma_f64 v[30:31], v[20:21], s[16:17], v[30:31]
	;; [unrolled: 1-line block ×3, first 2 shown]
	s_delay_alu instid0(VALU_DEP_1) | instskip(NEXT) | instid1(VALU_DEP_1)
	v_fma_f64 v[20:21], v[73:74], s[8:9], v[20:21]
	v_fma_f64 v[20:21], v[28:29], s[16:17], v[20:21]
	s_delay_alu instid0(VALU_DEP_1) | instskip(SKIP_1) | instid1(VALU_DEP_2)
	v_mul_f64 v[26:27], v[20:21], s[14:15]
	v_mul_f64 v[20:21], v[20:21], s[24:25]
	v_fma_f64 v[26:27], v[22:23], s[24:25], v[26:27]
	s_delay_alu instid0(VALU_DEP_2) | instskip(NEXT) | instid1(VALU_DEP_2)
	v_fma_f64 v[28:29], v[22:23], s[12:13], v[20:21]
	v_add_f64 v[20:21], v[24:25], v[26:27]
	s_delay_alu instid0(VALU_DEP_2) | instskip(SKIP_4) | instid1(VALU_DEP_2)
	v_add_f64 v[22:23], v[30:31], v[28:29]
	v_add_f64 v[24:25], v[24:25], -v[26:27]
	v_add_f64 v[26:27], v[30:31], -v[28:29]
	v_fma_f64 v[28:29], v[73:74], s[14:15], v[71:72]
	v_fma_f64 v[30:31], v[81:82], s[12:13], v[53:54]
	;; [unrolled: 1-line block ×3, first 2 shown]
	s_delay_alu instid0(VALU_DEP_2) | instskip(NEXT) | instid1(VALU_DEP_2)
	v_fma_f64 v[30:31], v[83:84], s[2:3], v[30:31]
	v_fma_f64 v[28:29], v[67:68], s[16:17], v[28:29]
	s_delay_alu instid0(VALU_DEP_2) | instskip(SKIP_1) | instid1(VALU_DEP_3)
	v_fma_f64 v[36:37], v[61:62], s[16:17], v[30:31]
	v_fma_f64 v[30:31], v[65:66], s[16:17], v[34:35]
	v_mul_f64 v[32:33], v[28:29], s[8:9]
	v_mul_f64 v[28:29], v[28:29], s[26:27]
	s_delay_alu instid0(VALU_DEP_2) | instskip(NEXT) | instid1(VALU_DEP_2)
	v_fma_f64 v[32:33], v[30:31], s[26:27], v[32:33]
	v_fma_f64 v[34:35], v[30:31], s[2:3], v[28:29]
	s_delay_alu instid0(VALU_DEP_2) | instskip(NEXT) | instid1(VALU_DEP_2)
	v_add_f64 v[28:29], v[36:37], v[32:33]
	v_add_f64 v[30:31], v[38:39], v[34:35]
	v_add_f64 v[32:33], v[36:37], -v[32:33]
	v_add_f64 v[34:35], v[38:39], -v[34:35]
	ds_store_b128 v176, v[0:3]
	ds_store_b128 v176, v[8:11] offset:1200
	ds_store_b128 v176, v[12:15] offset:2400
	;; [unrolled: 1-line block ×9, first 2 shown]
	s_waitcnt lgkmcnt(0)
	s_barrier
	buffer_gl0_inv
	scratch_load_b128 v[6:9], off, off offset:1668 ; 16-byte Folded Reload
	ds_load_b128 v[0:3], v48 offset:12000
	s_waitcnt vmcnt(0) lgkmcnt(0)
	v_mul_f64 v[4:5], v[8:9], v[2:3]
	s_delay_alu instid0(VALU_DEP_1) | instskip(SKIP_1) | instid1(VALU_DEP_1)
	v_fma_f64 v[12:13], v[6:7], v[0:1], v[4:5]
	v_mul_f64 v[0:1], v[8:9], v[0:1]
	v_fma_f64 v[14:15], v[6:7], v[2:3], -v[0:1]
	scratch_load_b128 v[6:9], off, off offset:1652 ; 16-byte Folded Reload
	ds_load_b128 v[0:3], v48 offset:24000
	s_waitcnt vmcnt(0) lgkmcnt(0)
	v_mul_f64 v[4:5], v[8:9], v[2:3]
	s_delay_alu instid0(VALU_DEP_1) | instskip(SKIP_1) | instid1(VALU_DEP_1)
	v_fma_f64 v[16:17], v[6:7], v[0:1], v[4:5]
	v_mul_f64 v[0:1], v[8:9], v[0:1]
	v_fma_f64 v[18:19], v[6:7], v[2:3], -v[0:1]
	scratch_load_b128 v[6:9], off, off offset:1636 ; 16-byte Folded Reload
	ds_load_b128 v[0:3], v48 offset:36000
	s_waitcnt vmcnt(0) lgkmcnt(0)
	v_mul_f64 v[4:5], v[8:9], v[2:3]
	s_delay_alu instid0(VALU_DEP_1) | instskip(SKIP_1) | instid1(VALU_DEP_2)
	v_fma_f64 v[20:21], v[6:7], v[0:1], v[4:5]
	v_mul_f64 v[0:1], v[8:9], v[0:1]
	v_add_f64 v[98:99], v[16:17], -v[20:21]
	s_delay_alu instid0(VALU_DEP_2)
	v_fma_f64 v[22:23], v[6:7], v[2:3], -v[0:1]
	scratch_load_b128 v[6:9], off, off offset:1620 ; 16-byte Folded Reload
	ds_load_b128 v[0:3], v48 offset:48000
	v_add_f64 v[92:93], v[18:19], -v[22:23]
	s_waitcnt vmcnt(0) lgkmcnt(0)
	v_mul_f64 v[4:5], v[8:9], v[2:3]
	s_delay_alu instid0(VALU_DEP_1) | instskip(SKIP_1) | instid1(VALU_DEP_2)
	v_fma_f64 v[24:25], v[6:7], v[0:1], v[4:5]
	v_mul_f64 v[0:1], v[8:9], v[0:1]
	v_add_f64 v[96:97], v[12:13], -v[24:25]
	s_delay_alu instid0(VALU_DEP_2)
	v_fma_f64 v[26:27], v[6:7], v[2:3], -v[0:1]
	scratch_load_b128 v[6:9], off, off offset:1700 ; 16-byte Folded Reload
	ds_load_b128 v[0:3], v48 offset:14000
	v_add_f64 v[30:31], v[14:15], -v[26:27]
	s_waitcnt vmcnt(0) lgkmcnt(0)
	v_mul_f64 v[4:5], v[8:9], v[2:3]
	s_delay_alu instid0(VALU_DEP_1) | instskip(SKIP_1) | instid1(VALU_DEP_1)
	v_fma_f64 v[32:33], v[6:7], v[0:1], v[4:5]
	v_mul_f64 v[0:1], v[8:9], v[0:1]
	v_fma_f64 v[34:35], v[6:7], v[2:3], -v[0:1]
	scratch_load_b128 v[6:9], off, off offset:1716 ; 16-byte Folded Reload
	ds_load_b128 v[0:3], v48 offset:26000
	s_waitcnt vmcnt(0) lgkmcnt(0)
	v_mul_f64 v[4:5], v[8:9], v[2:3]
	s_delay_alu instid0(VALU_DEP_1) | instskip(SKIP_1) | instid1(VALU_DEP_1)
	v_fma_f64 v[36:37], v[6:7], v[0:1], v[4:5]
	v_mul_f64 v[0:1], v[8:9], v[0:1]
	v_fma_f64 v[38:39], v[6:7], v[2:3], -v[0:1]
	scratch_load_b128 v[6:9], off, off offset:1684 ; 16-byte Folded Reload
	ds_load_b128 v[0:3], v48 offset:38000
	s_waitcnt vmcnt(0) lgkmcnt(0)
	v_mul_f64 v[4:5], v[8:9], v[2:3]
	s_delay_alu instid0(VALU_DEP_1) | instskip(SKIP_1) | instid1(VALU_DEP_2)
	v_fma_f64 v[40:41], v[6:7], v[0:1], v[4:5]
	v_mul_f64 v[0:1], v[8:9], v[0:1]
	v_add_f64 v[102:103], v[36:37], -v[40:41]
	s_delay_alu instid0(VALU_DEP_2) | instskip(SKIP_4) | instid1(VALU_DEP_1)
	v_fma_f64 v[42:43], v[6:7], v[2:3], -v[0:1]
	scratch_load_b128 v[6:9], off, off offset:1732 ; 16-byte Folded Reload
	ds_load_b128 v[0:3], v48 offset:50000
	s_waitcnt vmcnt(0) lgkmcnt(0)
	v_mul_f64 v[4:5], v[8:9], v[2:3]
	v_fma_f64 v[44:45], v[6:7], v[0:1], v[4:5]
	v_mul_f64 v[0:1], v[8:9], v[0:1]
	s_delay_alu instid0(VALU_DEP_1) | instskip(SKIP_4) | instid1(VALU_DEP_1)
	v_fma_f64 v[46:47], v[6:7], v[2:3], -v[0:1]
	scratch_load_b128 v[6:9], off, off offset:1764 ; 16-byte Folded Reload
	ds_load_b128 v[0:3], v48 offset:16000
	s_waitcnt vmcnt(0) lgkmcnt(0)
	v_mul_f64 v[4:5], v[8:9], v[2:3]
	v_fma_f64 v[50:51], v[6:7], v[0:1], v[4:5]
	v_mul_f64 v[0:1], v[8:9], v[0:1]
	s_delay_alu instid0(VALU_DEP_1) | instskip(SKIP_4) | instid1(VALU_DEP_1)
	;; [unrolled: 8-line block ×3, first 2 shown]
	v_fma_f64 v[54:55], v[6:7], v[2:3], -v[0:1]
	scratch_load_b128 v[6:9], off, off offset:1780 ; 16-byte Folded Reload
	ds_load_b128 v[0:3], v48 offset:40000
	s_waitcnt vmcnt(0) lgkmcnt(0)
	v_mul_f64 v[4:5], v[8:9], v[2:3]
	v_fma_f64 v[58:59], v[6:7], v[0:1], v[4:5]
	v_mul_f64 v[0:1], v[8:9], v[0:1]
	s_delay_alu instid0(VALU_DEP_2) | instskip(NEXT) | instid1(VALU_DEP_2)
	v_add_f64 v[106:107], v[52:53], -v[58:59]
	v_fma_f64 v[56:57], v[6:7], v[2:3], -v[0:1]
	scratch_load_b128 v[6:9], off, off offset:1748 ; 16-byte Folded Reload
	ds_load_b128 v[0:3], v48 offset:52000
	s_waitcnt vmcnt(0) lgkmcnt(0)
	v_mul_f64 v[4:5], v[8:9], v[2:3]
	s_delay_alu instid0(VALU_DEP_1) | instskip(SKIP_1) | instid1(VALU_DEP_1)
	v_fma_f64 v[134:135], v[6:7], v[0:1], v[4:5]
	v_mul_f64 v[0:1], v[8:9], v[0:1]
	v_fma_f64 v[136:137], v[6:7], v[2:3], -v[0:1]
	scratch_load_b128 v[6:9], off, off offset:1820 ; 16-byte Folded Reload
	ds_load_b128 v[0:3], v48 offset:18000
	s_waitcnt vmcnt(0) lgkmcnt(0)
	v_mul_f64 v[4:5], v[8:9], v[2:3]
	s_delay_alu instid0(VALU_DEP_1)
	v_fma_f64 v[110:111], v[6:7], v[0:1], v[4:5]
	v_mul_f64 v[0:1], v[8:9], v[0:1]
	ds_load_b128 v[8:11], v48
	v_fma_f64 v[108:109], v[6:7], v[2:3], -v[0:1]
	ds_load_b128 v[0:3], v48 offset:30000
	v_add_f64 v[6:7], v[18:19], v[22:23]
	s_waitcnt lgkmcnt(0)
	v_mul_f64 v[4:5], v[240:241], v[2:3]
	s_delay_alu instid0(VALU_DEP_2) | instskip(NEXT) | instid1(VALU_DEP_2)
	v_fma_f64 v[94:95], v[6:7], -0.5, v[10:11]
	v_fma_f64 v[118:119], v[238:239], v[0:1], v[4:5]
	v_mul_f64 v[0:1], v[240:241], v[0:1]
	s_delay_alu instid0(VALU_DEP_3) | instskip(SKIP_1) | instid1(VALU_DEP_3)
	v_fma_f64 v[6:7], v[96:97], s[12:13], v[94:95]
	v_fma_f64 v[94:95], v[96:97], s[14:15], v[94:95]
	v_fma_f64 v[112:113], v[238:239], v[2:3], -v[0:1]
	ds_load_b128 v[0:3], v48 offset:42000
	v_fma_f64 v[6:7], v[98:99], s[2:3], v[6:7]
	v_fma_f64 v[94:95], v[98:99], s[8:9], v[94:95]
	s_waitcnt lgkmcnt(0)
	v_mul_f64 v[4:5], v[236:237], v[2:3]
	s_delay_alu instid0(VALU_DEP_1) | instskip(SKIP_1) | instid1(VALU_DEP_1)
	v_fma_f64 v[114:115], v[234:235], v[0:1], v[4:5]
	v_mul_f64 v[0:1], v[236:237], v[0:1]
	v_fma_f64 v[120:121], v[234:235], v[2:3], -v[0:1]
	ds_load_b128 v[0:3], v48 offset:54000
	s_waitcnt lgkmcnt(0)
	v_mul_f64 v[4:5], v[232:233], v[2:3]
	v_add_f64 v[128:129], v[112:113], -v[120:121]
	s_delay_alu instid0(VALU_DEP_2) | instskip(SKIP_1) | instid1(VALU_DEP_2)
	v_fma_f64 v[126:127], v[230:231], v[0:1], v[4:5]
	v_mul_f64 v[0:1], v[232:233], v[0:1]
	v_add_f64 v[130:131], v[110:111], -v[126:127]
	s_delay_alu instid0(VALU_DEP_2) | instskip(SKIP_4) | instid1(VALU_DEP_2)
	v_fma_f64 v[116:117], v[230:231], v[2:3], -v[0:1]
	ds_load_b128 v[0:3], v48 offset:20000
	s_waitcnt lgkmcnt(0)
	v_mul_f64 v[4:5], v[228:229], v[2:3]
	v_add_f64 v[124:125], v[108:109], -v[116:117]
	v_fma_f64 v[76:77], v[226:227], v[0:1], v[4:5]
	v_mul_f64 v[0:1], v[228:229], v[0:1]
	s_delay_alu instid0(VALU_DEP_1) | instskip(SKIP_3) | instid1(VALU_DEP_1)
	v_fma_f64 v[72:73], v[226:227], v[2:3], -v[0:1]
	ds_load_b128 v[0:3], v48 offset:32000
	s_waitcnt lgkmcnt(0)
	v_mul_f64 v[4:5], v[166:167], v[2:3]
	v_fma_f64 v[78:79], v[164:165], v[0:1], v[4:5]
	v_mul_f64 v[0:1], v[166:167], v[0:1]
	s_delay_alu instid0(VALU_DEP_1) | instskip(SKIP_3) | instid1(VALU_DEP_1)
	v_fma_f64 v[74:75], v[164:165], v[2:3], -v[0:1]
	ds_load_b128 v[0:3], v48 offset:44000
	s_waitcnt lgkmcnt(0)
	v_mul_f64 v[4:5], v[170:171], v[2:3]
	;; [unrolled: 7-line block ×6, first 2 shown]
	v_fma_f64 v[70:71], v[160:161], v[0:1], v[4:5]
	v_mul_f64 v[0:1], v[162:163], v[0:1]
	s_delay_alu instid0(VALU_DEP_2) | instskip(NEXT) | instid1(VALU_DEP_2)
	v_add_f64 v[140:141], v[66:67], -v[70:71]
	v_fma_f64 v[68:69], v[160:161], v[2:3], -v[0:1]
	ds_load_b128 v[0:3], v48 offset:58000
	s_waitcnt lgkmcnt(0)
	v_mul_f64 v[4:5], v[244:245], v[2:3]
	s_delay_alu instid0(VALU_DEP_1) | instskip(SKIP_2) | instid1(VALU_DEP_3)
	v_fma_f64 v[84:85], v[242:243], v[0:1], v[4:5]
	v_mul_f64 v[0:1], v[244:245], v[0:1]
	v_add_f64 v[4:5], v[26:27], -v[22:23]
	v_add_f64 v[142:143], v[62:63], -v[84:85]
	s_delay_alu instid0(VALU_DEP_3) | instskip(SKIP_2) | instid1(VALU_DEP_1)
	v_fma_f64 v[80:81], v[242:243], v[2:3], -v[0:1]
	v_add_f64 v[0:1], v[12:13], -v[16:17]
	v_add_f64 v[2:3], v[24:25], -v[20:21]
	v_add_f64 v[0:1], v[0:1], v[2:3]
	v_add_f64 v[2:3], v[14:15], -v[18:19]
	s_delay_alu instid0(VALU_DEP_1) | instskip(SKIP_1) | instid1(VALU_DEP_2)
	v_add_f64 v[2:3], v[2:3], v[4:5]
	v_add_f64 v[4:5], v[16:17], v[20:21]
	v_fma_f64 v[6:7], v[2:3], s[16:17], v[6:7]
	s_delay_alu instid0(VALU_DEP_2) | instskip(SKIP_2) | instid1(VALU_DEP_3)
	v_fma_f64 v[28:29], v[4:5], -0.5, v[8:9]
	v_fma_f64 v[2:3], v[2:3], s[16:17], v[94:95]
	v_add_f64 v[94:95], v[14:15], v[26:27]
	v_fma_f64 v[4:5], v[30:31], s[14:15], v[28:29]
	v_fma_f64 v[28:29], v[30:31], s[12:13], v[28:29]
	s_delay_alu instid0(VALU_DEP_3) | instskip(SKIP_1) | instid1(VALU_DEP_4)
	v_fma_f64 v[94:95], v[94:95], -0.5, v[10:11]
	v_add_f64 v[10:11], v[10:11], v[14:15]
	v_fma_f64 v[4:5], v[92:93], s[8:9], v[4:5]
	s_delay_alu instid0(VALU_DEP_4) | instskip(NEXT) | instid1(VALU_DEP_3)
	v_fma_f64 v[28:29], v[92:93], s[2:3], v[28:29]
	v_add_f64 v[10:11], v[10:11], v[18:19]
	v_add_f64 v[18:19], v[18:19], -v[14:15]
	s_delay_alu instid0(VALU_DEP_4) | instskip(NEXT) | instid1(VALU_DEP_4)
	v_fma_f64 v[4:5], v[0:1], s[16:17], v[4:5]
	v_fma_f64 v[0:1], v[0:1], s[16:17], v[28:29]
	v_add_f64 v[28:29], v[12:13], v[24:25]
	v_add_f64 v[10:11], v[10:11], v[22:23]
	s_delay_alu instid0(VALU_DEP_2) | instskip(SKIP_1) | instid1(VALU_DEP_3)
	v_fma_f64 v[28:29], v[28:29], -0.5, v[8:9]
	v_add_f64 v[8:9], v[8:9], v[12:13]
	v_add_f64 v[14:15], v[10:11], v[26:27]
	v_fma_f64 v[10:11], v[98:99], s[14:15], v[94:95]
	s_delay_alu instid0(VALU_DEP_4) | instskip(NEXT) | instid1(VALU_DEP_4)
	v_fma_f64 v[100:101], v[92:93], s[12:13], v[28:29]
	v_add_f64 v[8:9], v[8:9], v[16:17]
	v_add_f64 v[16:17], v[16:17], -v[12:13]
	v_fma_f64 v[28:29], v[92:93], s[14:15], v[28:29]
	s_delay_alu instid0(VALU_DEP_3) | instskip(SKIP_1) | instid1(VALU_DEP_2)
	v_add_f64 v[8:9], v[8:9], v[20:21]
	v_add_f64 v[20:21], v[20:21], -v[24:25]
	v_add_f64 v[12:13], v[8:9], v[24:25]
	v_add_f64 v[8:9], v[22:23], -v[26:27]
	v_fma_f64 v[22:23], v[98:99], s[12:13], v[94:95]
	s_delay_alu instid0(VALU_DEP_4)
	v_add_f64 v[20:21], v[16:17], v[20:21]
	v_fma_f64 v[16:17], v[30:31], s[8:9], v[100:101]
	v_fma_f64 v[24:25], v[30:31], s[2:3], v[28:29]
	ds_load_b128 v[28:31], v48 offset:2000
	v_add_f64 v[98:99], v[38:39], -v[42:43]
	v_add_f64 v[100:101], v[32:33], -v[44:45]
	v_add_f64 v[26:27], v[18:19], v[8:9]
	v_fma_f64 v[8:9], v[96:97], s[2:3], v[10:11]
	v_fma_f64 v[10:11], v[96:97], s[8:9], v[22:23]
	;; [unrolled: 1-line block ×3, first 2 shown]
	v_add_f64 v[22:23], v[44:45], -v[40:41]
	v_add_f64 v[96:97], v[34:35], -v[46:47]
	v_fma_f64 v[18:19], v[26:27], s[16:17], v[8:9]
	v_fma_f64 v[8:9], v[20:21], s[16:17], v[24:25]
	v_add_f64 v[20:21], v[32:33], -v[36:37]
	v_add_f64 v[24:25], v[46:47], -v[42:43]
	v_fma_f64 v[10:11], v[26:27], s[16:17], v[10:11]
	s_delay_alu instid0(VALU_DEP_3) | instskip(SKIP_1) | instid1(VALU_DEP_1)
	v_add_f64 v[20:21], v[20:21], v[22:23]
	v_add_f64 v[22:23], v[34:35], -v[38:39]
	v_add_f64 v[22:23], v[22:23], v[24:25]
	v_add_f64 v[24:25], v[36:37], v[40:41]
	s_waitcnt lgkmcnt(0)
	s_delay_alu instid0(VALU_DEP_1) | instskip(SKIP_1) | instid1(VALU_DEP_1)
	v_fma_f64 v[92:93], v[24:25], -0.5, v[28:29]
	v_add_f64 v[24:25], v[38:39], v[42:43]
	v_fma_f64 v[94:95], v[24:25], -0.5, v[30:31]
	s_delay_alu instid0(VALU_DEP_3) | instskip(SKIP_1) | instid1(VALU_DEP_3)
	v_fma_f64 v[24:25], v[96:97], s[14:15], v[92:93]
	v_fma_f64 v[92:93], v[96:97], s[12:13], v[92:93]
	;; [unrolled: 1-line block ×3, first 2 shown]
	s_delay_alu instid0(VALU_DEP_3) | instskip(SKIP_1) | instid1(VALU_DEP_4)
	v_fma_f64 v[24:25], v[98:99], s[8:9], v[24:25]
	v_fma_f64 v[94:95], v[100:101], s[14:15], v[94:95]
	;; [unrolled: 1-line block ×3, first 2 shown]
	s_delay_alu instid0(VALU_DEP_4) | instskip(NEXT) | instid1(VALU_DEP_4)
	v_fma_f64 v[26:27], v[102:103], s[2:3], v[26:27]
	v_fma_f64 v[24:25], v[20:21], s[16:17], v[24:25]
	s_delay_alu instid0(VALU_DEP_4) | instskip(NEXT) | instid1(VALU_DEP_4)
	v_fma_f64 v[94:95], v[102:103], s[8:9], v[94:95]
	v_fma_f64 v[20:21], v[20:21], s[16:17], v[92:93]
	v_add_f64 v[92:93], v[32:33], v[44:45]
	v_fma_f64 v[26:27], v[22:23], s[16:17], v[26:27]
	s_delay_alu instid0(VALU_DEP_4) | instskip(SKIP_1) | instid1(VALU_DEP_4)
	v_fma_f64 v[22:23], v[22:23], s[16:17], v[94:95]
	v_add_f64 v[94:95], v[34:35], v[46:47]
	v_fma_f64 v[92:93], v[92:93], -0.5, v[28:29]
	v_add_f64 v[28:29], v[28:29], v[32:33]
	v_add_f64 v[32:33], v[36:37], -v[32:33]
	s_delay_alu instid0(VALU_DEP_4) | instskip(SKIP_1) | instid1(VALU_DEP_4)
	v_fma_f64 v[94:95], v[94:95], -0.5, v[30:31]
	v_add_f64 v[30:31], v[30:31], v[34:35]
	v_add_f64 v[28:29], v[28:29], v[36:37]
	v_fma_f64 v[104:105], v[98:99], s[12:13], v[92:93]
	v_add_f64 v[36:37], v[40:41], -v[44:45]
	v_add_f64 v[34:35], v[38:39], -v[34:35]
	v_fma_f64 v[92:93], v[98:99], s[14:15], v[92:93]
	v_add_f64 v[98:99], v[132:133], -v[136:137]
	v_add_f64 v[30:31], v[30:31], v[38:39]
	v_add_f64 v[28:29], v[28:29], v[40:41]
	v_add_f64 v[38:39], v[42:43], -v[46:47]
	v_fma_f64 v[40:41], v[102:103], s[14:15], v[94:95]
	v_add_f64 v[32:33], v[32:33], v[36:37]
	v_fma_f64 v[36:37], v[96:97], s[8:9], v[104:105]
	v_add_f64 v[104:105], v[50:51], -v[134:135]
	v_add_f64 v[30:31], v[30:31], v[42:43]
	v_fma_f64 v[42:43], v[102:103], s[12:13], v[94:95]
	v_add_f64 v[34:35], v[34:35], v[38:39]
	v_fma_f64 v[38:39], v[100:101], s[2:3], v[40:41]
	;; [unrolled: 2-line block ×3, first 2 shown]
	v_fma_f64 v[40:41], v[32:33], s[16:17], v[36:37]
	v_add_f64 v[36:37], v[50:51], -v[52:53]
	ds_load_b128 v[92:95], v48 offset:4000
	v_add_f64 v[30:31], v[30:31], v[46:47]
	v_fma_f64 v[46:47], v[100:101], s[8:9], v[42:43]
	v_add_f64 v[100:101], v[54:55], -v[56:57]
	v_fma_f64 v[42:43], v[34:35], s[16:17], v[38:39]
	v_add_f64 v[38:39], v[134:135], -v[58:59]
	;; [unrolled: 2-line block ×3, first 2 shown]
	v_fma_f64 v[34:35], v[34:35], s[16:17], v[46:47]
	v_add_f64 v[46:47], v[54:55], v[56:57]
	v_add_f64 v[36:37], v[36:37], v[38:39]
	v_add_f64 v[38:39], v[132:133], -v[54:55]
	s_waitcnt lgkmcnt(0)
	s_delay_alu instid0(VALU_DEP_3) | instskip(NEXT) | instid1(VALU_DEP_2)
	v_fma_f64 v[102:103], v[46:47], -0.5, v[94:95]
	v_add_f64 v[38:39], v[38:39], v[44:45]
	v_add_f64 v[44:45], v[52:53], v[58:59]
	s_delay_alu instid0(VALU_DEP_3) | instskip(SKIP_1) | instid1(VALU_DEP_3)
	v_fma_f64 v[46:47], v[104:105], s[12:13], v[102:103]
	v_fma_f64 v[102:103], v[104:105], s[14:15], v[102:103]
	v_fma_f64 v[96:97], v[44:45], -0.5, v[92:93]
	s_delay_alu instid0(VALU_DEP_3) | instskip(NEXT) | instid1(VALU_DEP_3)
	v_fma_f64 v[46:47], v[106:107], s[2:3], v[46:47]
	v_fma_f64 v[102:103], v[106:107], s[8:9], v[102:103]
	s_delay_alu instid0(VALU_DEP_3) | instskip(SKIP_1) | instid1(VALU_DEP_4)
	v_fma_f64 v[44:45], v[98:99], s[14:15], v[96:97]
	v_fma_f64 v[96:97], v[98:99], s[12:13], v[96:97]
	v_fma_f64 v[46:47], v[38:39], s[16:17], v[46:47]
	s_delay_alu instid0(VALU_DEP_4) | instskip(SKIP_3) | instid1(VALU_DEP_3)
	v_fma_f64 v[38:39], v[38:39], s[16:17], v[102:103]
	v_add_f64 v[102:103], v[132:133], v[136:137]
	v_fma_f64 v[44:45], v[100:101], s[8:9], v[44:45]
	v_fma_f64 v[96:97], v[100:101], s[2:3], v[96:97]
	v_fma_f64 v[102:103], v[102:103], -0.5, v[94:95]
	v_add_f64 v[94:95], v[94:95], v[132:133]
	s_delay_alu instid0(VALU_DEP_4) | instskip(NEXT) | instid1(VALU_DEP_4)
	v_fma_f64 v[44:45], v[36:37], s[16:17], v[44:45]
	v_fma_f64 v[36:37], v[36:37], s[16:17], v[96:97]
	v_add_f64 v[96:97], v[50:51], v[134:135]
	s_delay_alu instid0(VALU_DEP_1) | instskip(SKIP_2) | instid1(VALU_DEP_3)
	v_fma_f64 v[96:97], v[96:97], -0.5, v[92:93]
	v_add_f64 v[92:93], v[92:93], v[50:51]
	v_add_f64 v[49:50], v[52:53], -v[50:51]
	v_fma_f64 v[122:123], v[100:101], s[12:13], v[96:97]
	s_delay_alu instid0(VALU_DEP_3)
	v_add_f64 v[51:52], v[92:93], v[52:53]
	v_fma_f64 v[96:97], v[100:101], s[14:15], v[96:97]
	v_add_f64 v[92:93], v[94:95], v[54:55]
	v_add_f64 v[53:54], v[54:55], -v[132:133]
	v_fma_f64 v[100:101], v[106:107], s[12:13], v[102:103]
	v_add_f64 v[132:133], v[118:119], -v[114:115]
	v_add_f64 v[51:52], v[51:52], v[58:59]
	v_add_f64 v[58:59], v[58:59], -v[134:135]
	v_add_f64 v[94:95], v[92:93], v[56:57]
	v_fma_f64 v[96:97], v[98:99], s[2:3], v[96:97]
	v_fma_f64 v[100:101], v[104:105], s[8:9], v[100:101]
	v_add_f64 v[92:93], v[51:52], v[134:135]
	v_add_f64 v[51:52], v[56:57], -v[136:137]
	v_fma_f64 v[55:56], v[106:107], s[14:15], v[102:103]
	v_add_f64 v[49:50], v[49:50], v[58:59]
	v_fma_f64 v[57:58], v[98:99], s[8:9], v[122:123]
	v_add_f64 v[94:95], v[94:95], v[136:137]
	v_add_f64 v[136:137], v[78:79], -v[86:87]
	v_add_f64 v[98:99], v[53:54], v[51:52]
	v_fma_f64 v[54:55], v[104:105], s[2:3], v[55:56]
	v_fma_f64 v[52:53], v[49:50], s[16:17], v[57:58]
	;; [unrolled: 1-line block ×3, first 2 shown]
	v_add_f64 v[49:50], v[110:111], -v[118:119]
	v_add_f64 v[96:97], v[126:127], -v[114:115]
	v_fma_f64 v[58:59], v[98:99], s[16:17], v[100:101]
	v_fma_f64 v[54:55], v[98:99], s[16:17], v[54:55]
	v_add_f64 v[98:99], v[116:117], -v[120:121]
	v_add_f64 v[100:101], v[118:119], v[114:115]
	v_add_f64 v[49:50], v[49:50], v[96:97]
	v_add_f64 v[96:97], v[108:109], -v[112:113]
	s_delay_alu instid0(VALU_DEP_1) | instskip(SKIP_4) | instid1(VALU_DEP_1)
	v_add_f64 v[106:107], v[96:97], v[98:99]
	ds_load_b128 v[96:99], v48 offset:6000
	s_waitcnt lgkmcnt(0)
	v_fma_f64 v[104:105], v[100:101], -0.5, v[96:97]
	v_add_f64 v[100:101], v[112:113], v[120:121]
	v_fma_f64 v[122:123], v[100:101], -0.5, v[98:99]
	s_delay_alu instid0(VALU_DEP_3) | instskip(SKIP_1) | instid1(VALU_DEP_3)
	v_fma_f64 v[100:101], v[124:125], s[14:15], v[104:105]
	v_fma_f64 v[104:105], v[124:125], s[12:13], v[104:105]
	;; [unrolled: 1-line block ×4, first 2 shown]
	s_delay_alu instid0(VALU_DEP_4) | instskip(NEXT) | instid1(VALU_DEP_4)
	v_fma_f64 v[100:101], v[128:129], s[8:9], v[100:101]
	v_fma_f64 v[104:105], v[128:129], s[2:3], v[104:105]
	s_delay_alu instid0(VALU_DEP_4) | instskip(NEXT) | instid1(VALU_DEP_4)
	v_fma_f64 v[102:103], v[132:133], s[2:3], v[102:103]
	v_fma_f64 v[122:123], v[132:133], s[8:9], v[122:123]
	;; [unrolled: 3-line block ×3, first 2 shown]
	v_add_f64 v[49:50], v[110:111], v[126:127]
	v_fma_f64 v[102:103], v[106:107], s[16:17], v[102:103]
	v_fma_f64 v[106:107], v[106:107], s[16:17], v[122:123]
	v_add_f64 v[122:123], v[108:109], v[116:117]
	s_delay_alu instid0(VALU_DEP_4) | instskip(SKIP_2) | instid1(VALU_DEP_4)
	v_fma_f64 v[49:50], v[49:50], -0.5, v[96:97]
	v_add_f64 v[96:97], v[96:97], v[110:111]
	v_add_f64 v[110:111], v[118:119], -v[110:111]
	v_fma_f64 v[122:123], v[122:123], -0.5, v[98:99]
	v_add_f64 v[98:99], v[98:99], v[108:109]
	v_fma_f64 v[134:135], v[128:129], s[12:13], v[49:50]
	v_add_f64 v[96:97], v[96:97], v[118:119]
	v_fma_f64 v[49:50], v[128:129], s[14:15], v[49:50]
	v_add_f64 v[108:109], v[112:113], -v[108:109]
	v_fma_f64 v[118:119], v[132:133], s[12:13], v[122:123]
	v_add_f64 v[98:99], v[98:99], v[112:113]
	v_add_f64 v[112:113], v[120:121], -v[116:117]
	v_add_f64 v[96:97], v[96:97], v[114:115]
	v_add_f64 v[114:115], v[114:115], -v[126:127]
	v_fma_f64 v[49:50], v[124:125], s[2:3], v[49:50]
	v_add_f64 v[98:99], v[98:99], v[120:121]
	v_add_f64 v[120:121], v[108:109], v[112:113]
	v_add_f64 v[96:97], v[96:97], v[126:127]
	v_add_f64 v[114:115], v[110:111], v[114:115]
	v_fma_f64 v[110:111], v[124:125], s[8:9], v[134:135]
	v_add_f64 v[134:135], v[76:77], -v[90:91]
	v_add_f64 v[98:99], v[98:99], v[116:117]
	v_fma_f64 v[116:117], v[132:133], s[14:15], v[122:123]
	v_add_f64 v[132:133], v[74:75], -v[82:83]
	v_fma_f64 v[108:109], v[114:115], s[16:17], v[110:111]
	s_delay_alu instid0(VALU_DEP_3) | instskip(SKIP_3) | instid1(VALU_DEP_4)
	v_fma_f64 v[112:113], v[130:131], s[2:3], v[116:117]
	v_fma_f64 v[116:117], v[130:131], s[8:9], v[118:119]
	v_add_f64 v[118:119], v[88:89], -v[82:83]
	v_add_f64 v[130:131], v[72:73], -v[88:89]
	v_fma_f64 v[110:111], v[120:121], s[16:17], v[112:113]
	v_fma_f64 v[112:113], v[114:115], s[16:17], v[49:50]
	;; [unrolled: 1-line block ×3, first 2 shown]
	v_add_f64 v[49:50], v[76:77], -v[78:79]
	v_add_f64 v[116:117], v[90:91], -v[86:87]
	v_add_f64 v[120:121], v[78:79], v[86:87]
	s_delay_alu instid0(VALU_DEP_2) | instskip(SKIP_1) | instid1(VALU_DEP_1)
	v_add_f64 v[49:50], v[49:50], v[116:117]
	v_add_f64 v[116:117], v[72:73], -v[74:75]
	v_add_f64 v[126:127], v[116:117], v[118:119]
	ds_load_b128 v[116:119], v48 offset:8000
	s_waitcnt lgkmcnt(0)
	v_fma_f64 v[124:125], v[120:121], -0.5, v[116:117]
	v_add_f64 v[120:121], v[74:75], v[82:83]
	s_delay_alu instid0(VALU_DEP_1) | instskip(NEXT) | instid1(VALU_DEP_3)
	v_fma_f64 v[128:129], v[120:121], -0.5, v[118:119]
	v_fma_f64 v[120:121], v[130:131], s[14:15], v[124:125]
	v_fma_f64 v[124:125], v[130:131], s[12:13], v[124:125]
	s_delay_alu instid0(VALU_DEP_3) | instskip(SKIP_1) | instid1(VALU_DEP_4)
	v_fma_f64 v[122:123], v[134:135], s[12:13], v[128:129]
	v_fma_f64 v[128:129], v[134:135], s[14:15], v[128:129]
	;; [unrolled: 1-line block ×3, first 2 shown]
	s_delay_alu instid0(VALU_DEP_4) | instskip(NEXT) | instid1(VALU_DEP_4)
	v_fma_f64 v[124:125], v[132:133], s[2:3], v[124:125]
	v_fma_f64 v[122:123], v[136:137], s[2:3], v[122:123]
	s_delay_alu instid0(VALU_DEP_4) | instskip(NEXT) | instid1(VALU_DEP_4)
	v_fma_f64 v[128:129], v[136:137], s[8:9], v[128:129]
	v_fma_f64 v[120:121], v[49:50], s[16:17], v[120:121]
	s_delay_alu instid0(VALU_DEP_4) | instskip(SKIP_4) | instid1(VALU_DEP_4)
	v_fma_f64 v[124:125], v[49:50], s[16:17], v[124:125]
	v_add_f64 v[49:50], v[76:77], v[90:91]
	v_fma_f64 v[122:123], v[126:127], s[16:17], v[122:123]
	v_fma_f64 v[126:127], v[126:127], s[16:17], v[128:129]
	v_add_f64 v[128:129], v[72:73], v[88:89]
	v_fma_f64 v[49:50], v[49:50], -0.5, v[116:117]
	v_add_f64 v[116:117], v[116:117], v[76:77]
	s_delay_alu instid0(VALU_DEP_3) | instskip(SKIP_1) | instid1(VALU_DEP_4)
	v_fma_f64 v[128:129], v[128:129], -0.5, v[118:119]
	v_add_f64 v[118:119], v[118:119], v[72:73]
	v_fma_f64 v[138:139], v[132:133], s[12:13], v[49:50]
	v_fma_f64 v[49:50], v[132:133], s[14:15], v[49:50]
	v_add_f64 v[132:133], v[78:79], -v[76:77]
	v_add_f64 v[76:77], v[116:117], v[78:79]
	v_add_f64 v[72:73], v[74:75], -v[72:73]
	v_add_f64 v[78:79], v[118:119], v[74:75]
	v_add_f64 v[74:75], v[82:83], -v[88:89]
	v_fma_f64 v[49:50], v[130:131], s[2:3], v[49:50]
	v_add_f64 v[76:77], v[76:77], v[86:87]
	v_add_f64 v[86:87], v[86:87], -v[90:91]
	v_add_f64 v[78:79], v[78:79], v[82:83]
	v_fma_f64 v[82:83], v[136:137], s[14:15], v[128:129]
	v_add_f64 v[116:117], v[72:73], v[74:75]
	v_add_f64 v[76:77], v[76:77], v[90:91]
	;; [unrolled: 1-line block ×3, first 2 shown]
	v_fma_f64 v[90:91], v[130:131], s[8:9], v[138:139]
	v_add_f64 v[138:139], v[60:61], -v[80:81]
	v_add_f64 v[78:79], v[78:79], v[88:89]
	v_fma_f64 v[88:89], v[136:137], s[12:13], v[128:129]
	v_fma_f64 v[74:75], v[134:135], s[2:3], v[82:83]
	v_add_f64 v[128:129], v[60:61], v[80:81]
	v_add_f64 v[136:137], v[64:65], -v[68:69]
	v_fma_f64 v[72:73], v[86:87], s[16:17], v[90:91]
	v_fma_f64 v[86:87], v[86:87], s[16:17], v[49:50]
	v_add_f64 v[49:50], v[66:67], -v[62:63]
	v_add_f64 v[90:91], v[68:69], -v[80:81]
	v_fma_f64 v[82:83], v[134:135], s[8:9], v[88:89]
	v_fma_f64 v[74:75], v[116:117], s[16:17], v[74:75]
	s_delay_alu instid0(VALU_DEP_2)
	v_fma_f64 v[88:89], v[116:117], s[16:17], v[82:83]
	v_add_f64 v[82:83], v[70:71], -v[84:85]
	ds_load_b128 v[116:119], v48 offset:10000
	s_waitcnt lgkmcnt(0)
	v_fma_f64 v[132:133], v[128:129], -0.5, v[118:119]
	v_add_f64 v[49:50], v[49:50], v[82:83]
	v_add_f64 v[82:83], v[64:65], -v[60:61]
	s_delay_alu instid0(VALU_DEP_3) | instskip(SKIP_1) | instid1(VALU_DEP_3)
	v_fma_f64 v[130:131], v[140:141], s[14:15], v[132:133]
	v_fma_f64 v[132:133], v[140:141], s[12:13], v[132:133]
	v_add_f64 v[82:83], v[82:83], v[90:91]
	v_add_f64 v[90:91], v[62:63], v[84:85]
	s_delay_alu instid0(VALU_DEP_4) | instskip(NEXT) | instid1(VALU_DEP_4)
	v_fma_f64 v[130:131], v[142:143], s[2:3], v[130:131]
	v_fma_f64 v[134:135], v[142:143], s[8:9], v[132:133]
	s_delay_alu instid0(VALU_DEP_3) | instskip(NEXT) | instid1(VALU_DEP_3)
	v_fma_f64 v[90:91], v[90:91], -0.5, v[116:117]
	v_fma_f64 v[130:131], v[82:83], s[16:17], v[130:131]
	s_delay_alu instid0(VALU_DEP_3) | instskip(SKIP_1) | instid1(VALU_DEP_4)
	v_fma_f64 v[134:135], v[82:83], s[16:17], v[134:135]
	v_add_f64 v[82:83], v[64:65], v[68:69]
	v_fma_f64 v[128:129], v[136:137], s[12:13], v[90:91]
	v_fma_f64 v[90:91], v[136:137], s[14:15], v[90:91]
	s_delay_alu instid0(VALU_DEP_2) | instskip(NEXT) | instid1(VALU_DEP_2)
	v_fma_f64 v[128:129], v[138:139], s[8:9], v[128:129]
	v_fma_f64 v[90:91], v[138:139], s[2:3], v[90:91]
	s_delay_alu instid0(VALU_DEP_2) | instskip(NEXT) | instid1(VALU_DEP_2)
	v_fma_f64 v[128:129], v[49:50], s[16:17], v[128:129]
	v_fma_f64 v[132:133], v[49:50], s[16:17], v[90:91]
	v_add_f64 v[49:50], v[66:67], v[70:71]
	v_fma_f64 v[90:91], v[82:83], -0.5, v[118:119]
	v_add_f64 v[82:83], v[116:117], v[62:63]
	v_add_f64 v[62:63], v[62:63], -v[66:67]
	s_delay_alu instid0(VALU_DEP_4) | instskip(SKIP_1) | instid1(VALU_DEP_4)
	v_fma_f64 v[49:50], v[49:50], -0.5, v[116:117]
	v_add_f64 v[116:117], v[118:119], v[60:61]
	v_add_f64 v[66:67], v[82:83], v[66:67]
	v_add_f64 v[60:61], v[60:61], -v[64:65]
	s_delay_alu instid0(VALU_DEP_3) | instskip(NEXT) | instid1(VALU_DEP_3)
	v_add_f64 v[82:83], v[116:117], v[64:65]
	v_add_f64 v[66:67], v[66:67], v[70:71]
	v_add_f64 v[70:71], v[84:85], -v[70:71]
	v_fma_f64 v[64:65], v[138:139], s[14:15], v[49:50]
	v_fma_f64 v[49:50], v[138:139], s[12:13], v[49:50]
	v_add_f64 v[116:117], v[82:83], v[68:69]
	v_add_f64 v[82:83], v[66:67], v[84:85]
	v_add_f64 v[66:67], v[80:81], -v[68:69]
	v_fma_f64 v[68:69], v[142:143], s[12:13], v[90:91]
	v_add_f64 v[70:71], v[62:63], v[70:71]
	v_fma_f64 v[62:63], v[136:137], s[8:9], v[64:65]
	v_fma_f64 v[49:50], v[136:137], s[2:3], v[49:50]
	v_add_f64 v[84:85], v[116:117], v[80:81]
	v_fma_f64 v[80:81], v[142:143], s[14:15], v[90:91]
	v_add_f64 v[66:67], v[60:61], v[66:67]
	v_fma_f64 v[64:65], v[140:141], s[2:3], v[68:69]
	s_mul_i32 s2, s5, 0x4e20
	v_fma_f64 v[60:61], v[70:71], s[16:17], v[62:63]
	s_mul_hi_u32 s3, s4, 0x4e20
	s_delay_alu instid0(SALU_CYCLE_1) | instskip(SKIP_1) | instid1(VALU_DEP_4)
	s_add_i32 s2, s3, s2
	s_mul_i32 s3, s4, 0x4e20
	v_fma_f64 v[68:69], v[140:141], s[8:9], v[80:81]
	s_delay_alu instid0(VALU_DEP_3) | instskip(SKIP_1) | instid1(VALU_DEP_3)
	v_fma_f64 v[62:63], v[66:67], s[16:17], v[64:65]
	v_fma_f64 v[64:65], v[70:71], s[16:17], v[49:50]
	;; [unrolled: 1-line block ×3, first 2 shown]
	ds_store_b128 v48, v[12:15]
	ds_store_b128 v48, v[4:7] offset:12000
	ds_store_b128 v48, v[16:19] offset:24000
	ds_store_b128 v48, v[8:11] offset:36000
	ds_store_b128 v48, v[0:3] offset:48000
	ds_store_b128 v48, v[28:31] offset:2000
	ds_store_b128 v48, v[24:27] offset:14000
	ds_store_b128 v48, v[40:43] offset:26000
	ds_store_b128 v48, v[32:35] offset:38000
	ds_store_b128 v48, v[20:23] offset:50000
	ds_store_b128 v48, v[92:95] offset:4000
	ds_store_b128 v48, v[44:47] offset:16000
	ds_store_b128 v48, v[52:55] offset:28000
	ds_store_b128 v48, v[56:59] offset:40000
	ds_store_b128 v48, v[36:39] offset:52000
	ds_store_b128 v48, v[96:99] offset:6000
	ds_store_b128 v48, v[100:103] offset:18000
	ds_store_b128 v48, v[108:111] offset:30000
	ds_store_b128 v48, v[112:115] offset:42000
	ds_store_b128 v48, v[104:107] offset:54000
	ds_store_b128 v48, v[76:79] offset:8000
	ds_store_b128 v48, v[120:123] offset:20000
	ds_store_b128 v48, v[72:75] offset:32000
	ds_store_b128 v48, v[86:89] offset:44000
	ds_store_b128 v48, v[124:127] offset:56000
	ds_store_b128 v48, v[82:85] offset:10000
	ds_store_b128 v48, v[60:63] offset:22000
	ds_store_b128 v48, v[128:131] offset:34000
	ds_store_b128 v48, v[132:135] offset:46000
	ds_store_b128 v48, v[64:67] offset:58000
	s_waitcnt lgkmcnt(0)
	s_barrier
	buffer_gl0_inv
	s_clause 0x5
	scratch_load_b128 v[6:9], off, off offset:472
	scratch_load_b128 v[10:13], off, off offset:456
	;; [unrolled: 1-line block ×6, first 2 shown]
	ds_load_b128 v[0:3], v48
	s_clause 0xc
	scratch_load_b128 v[30:33], off, off offset:360
	scratch_load_b128 v[34:37], off, off offset:376
	;; [unrolled: 1-line block ×12, first 2 shown]
	scratch_load_b32 v83, off, off offset:488
	s_waitcnt vmcnt(18) lgkmcnt(0)
	v_mul_f64 v[4:5], v[8:9], v[2:3]
	s_delay_alu instid0(VALU_DEP_1) | instskip(SKIP_1) | instid1(VALU_DEP_1)
	v_fma_f64 v[4:5], v[6:7], v[0:1], v[4:5]
	v_mul_f64 v[0:1], v[8:9], v[0:1]
	v_fma_f64 v[6:7], v[6:7], v[2:3], -v[0:1]
	ds_load_b128 v[0:3], v48 offset:20000
	s_waitcnt vmcnt(17) lgkmcnt(0)
	v_mul_f64 v[8:9], v[12:13], v[2:3]
	s_delay_alu instid0(VALU_DEP_1) | instskip(SKIP_1) | instid1(VALU_DEP_1)
	v_fma_f64 v[8:9], v[10:11], v[0:1], v[8:9]
	v_mul_f64 v[0:1], v[12:13], v[0:1]
	v_fma_f64 v[10:11], v[10:11], v[2:3], -v[0:1]
	ds_load_b128 v[0:3], v48 offset:40000
	;; [unrolled: 7-line block ×4, first 2 shown]
	s_waitcnt lgkmcnt(0)
	v_mul_f64 v[20:21], v[24:25], v[2:3]
	s_delay_alu instid0(VALU_DEP_1) | instskip(SKIP_1) | instid1(VALU_DEP_1)
	v_fma_f64 v[20:21], v[22:23], v[0:1], v[20:21]
	v_mul_f64 v[0:1], v[24:25], v[0:1]
	v_fma_f64 v[22:23], v[22:23], v[2:3], -v[0:1]
	ds_load_b128 v[0:3], v48 offset:42000
	s_waitcnt vmcnt(13) lgkmcnt(0)
	v_mul_f64 v[24:25], v[28:29], v[2:3]
	s_delay_alu instid0(VALU_DEP_1) | instskip(SKIP_1) | instid1(VALU_DEP_1)
	v_fma_f64 v[24:25], v[26:27], v[0:1], v[24:25]
	v_mul_f64 v[0:1], v[28:29], v[0:1]
	v_fma_f64 v[26:27], v[26:27], v[2:3], -v[0:1]
	ds_load_b128 v[0:3], v48 offset:4000
	s_waitcnt vmcnt(12) lgkmcnt(0)
	v_mul_f64 v[28:29], v[32:33], v[2:3]
	s_delay_alu instid0(VALU_DEP_1) | instskip(SKIP_1) | instid1(VALU_DEP_1)
	v_fma_f64 v[28:29], v[30:31], v[0:1], v[28:29]
	v_mul_f64 v[0:1], v[32:33], v[0:1]
	v_fma_f64 v[30:31], v[30:31], v[2:3], -v[0:1]
	ds_load_b128 v[0:3], v48 offset:24000
	s_waitcnt vmcnt(11) lgkmcnt(0)
	v_mul_f64 v[32:33], v[36:37], v[2:3]
	s_delay_alu instid0(VALU_DEP_1) | instskip(SKIP_1) | instid1(VALU_DEP_1)
	v_fma_f64 v[32:33], v[34:35], v[0:1], v[32:33]
	v_mul_f64 v[0:1], v[36:37], v[0:1]
	v_fma_f64 v[34:35], v[34:35], v[2:3], -v[0:1]
	ds_load_b128 v[0:3], v48 offset:44000
	s_waitcnt vmcnt(10) lgkmcnt(0)
	v_mul_f64 v[36:37], v[40:41], v[2:3]
	s_delay_alu instid0(VALU_DEP_1) | instskip(SKIP_1) | instid1(VALU_DEP_1)
	v_fma_f64 v[36:37], v[38:39], v[0:1], v[36:37]
	v_mul_f64 v[0:1], v[40:41], v[0:1]
	v_fma_f64 v[38:39], v[38:39], v[2:3], -v[0:1]
	ds_load_b128 v[0:3], v48 offset:6000
	s_waitcnt vmcnt(9) lgkmcnt(0)
	v_mul_f64 v[40:41], v[44:45], v[2:3]
	s_delay_alu instid0(VALU_DEP_1) | instskip(SKIP_1) | instid1(VALU_DEP_1)
	v_fma_f64 v[40:41], v[42:43], v[0:1], v[40:41]
	v_mul_f64 v[0:1], v[44:45], v[0:1]
	v_fma_f64 v[42:43], v[42:43], v[2:3], -v[0:1]
	ds_load_b128 v[0:3], v48 offset:26000
	s_waitcnt vmcnt(8) lgkmcnt(0)
	v_mul_f64 v[44:45], v[51:52], v[2:3]
	s_delay_alu instid0(VALU_DEP_1)
	v_fma_f64 v[44:45], v[49:50], v[0:1], v[44:45]
	v_mul_f64 v[0:1], v[51:52], v[0:1]
	scratch_load_b128 v[51:54], off, off offset:232 ; 16-byte Folded Reload
	v_fma_f64 v[46:47], v[49:50], v[2:3], -v[0:1]
	ds_load_b128 v[0:3], v48 offset:46000
	s_waitcnt vmcnt(0) lgkmcnt(0)
	v_mul_f64 v[49:50], v[53:54], v[2:3]
	s_delay_alu instid0(VALU_DEP_1) | instskip(SKIP_1) | instid1(VALU_DEP_1)
	v_fma_f64 v[49:50], v[51:52], v[0:1], v[49:50]
	v_mul_f64 v[0:1], v[53:54], v[0:1]
	v_fma_f64 v[51:52], v[51:52], v[2:3], -v[0:1]
	ds_load_b128 v[0:3], v48 offset:8000
	s_waitcnt lgkmcnt(0)
	v_mul_f64 v[53:54], v[57:58], v[2:3]
	s_delay_alu instid0(VALU_DEP_1) | instskip(SKIP_1) | instid1(VALU_DEP_1)
	v_fma_f64 v[53:54], v[55:56], v[0:1], v[53:54]
	v_mul_f64 v[0:1], v[57:58], v[0:1]
	v_fma_f64 v[55:56], v[55:56], v[2:3], -v[0:1]
	ds_load_b128 v[0:3], v48 offset:28000
	s_waitcnt lgkmcnt(0)
	;; [unrolled: 7-line block ×7, first 2 shown]
	v_mul_f64 v[77:78], v[81:82], v[2:3]
	s_delay_alu instid0(VALU_DEP_1)
	v_fma_f64 v[77:78], v[79:80], v[0:1], v[77:78]
	v_mul_f64 v[0:1], v[81:82], v[0:1]
	scratch_load_b64 v[81:82], off, off     ; 8-byte Folded Reload
	v_fma_f64 v[79:80], v[79:80], v[2:3], -v[0:1]
	s_waitcnt vmcnt(0)
	v_mad_u64_u32 v[0:1], null, s6, v81, 0
	s_mul_hi_u32 s6, s4, 0xffff6b90
	s_delay_alu instid0(SALU_CYCLE_1) | instskip(NEXT) | instid1(VALU_DEP_1)
	s_sub_i32 s6, s6, s4
	v_mad_u64_u32 v[2:3], null, s7, v81, v[1:2]
	s_delay_alu instid0(VALU_DEP_1) | instskip(SKIP_2) | instid1(VALU_DEP_2)
	v_mov_b32_e32 v1, v2
	v_mad_u64_u32 v[2:3], null, s4, v83, 0
	s_mul_i32 s4, s4, 0xffff6b90
	v_lshlrev_b64 v[0:1], 4, v[0:1]
	s_delay_alu instid0(VALU_DEP_2) | instskip(SKIP_1) | instid1(SALU_CYCLE_1)
	v_mad_u64_u32 v[81:82], null, s5, v83, v[3:4]
	s_mul_i32 s5, s5, 0xffff6b90
	s_add_i32 s5, s6, s5
	s_delay_alu instid0(VALU_DEP_1) | instskip(NEXT) | instid1(VALU_DEP_3)
	v_mov_b32_e32 v3, v81
	v_add_co_u32 v81, vcc_lo, s0, v0
	v_add_co_ci_u32_e32 v82, vcc_lo, s1, v1, vcc_lo
	s_delay_alu instid0(VALU_DEP_3) | instskip(SKIP_2) | instid1(SALU_CYCLE_1)
	v_lshlrev_b64 v[0:1], 4, v[2:3]
	s_mov_b32 s0, 0x9cbd821e
	s_mov_b32 s1, 0x3f3179ec
	v_mul_f64 v[2:3], v[6:7], s[0:1]
	v_mul_f64 v[6:7], v[26:27], s[0:1]
	s_delay_alu instid0(VALU_DEP_3) | instskip(SKIP_2) | instid1(VALU_DEP_3)
	v_add_co_u32 v81, vcc_lo, v81, v0
	v_add_co_ci_u32_e32 v82, vcc_lo, v82, v1, vcc_lo
	v_mul_f64 v[0:1], v[4:5], s[0:1]
	v_add_co_u32 v4, vcc_lo, v81, s3
	s_delay_alu instid0(VALU_DEP_3)
	v_add_co_ci_u32_e32 v5, vcc_lo, s2, v82, vcc_lo
	v_mul_f64 v[26:27], v[51:52], s[0:1]
	global_store_b128 v[81:82], v[0:3], off
	v_mul_f64 v[0:1], v[8:9], s[0:1]
	v_mul_f64 v[2:3], v[10:11], s[0:1]
	;; [unrolled: 1-line block ×5, first 2 shown]
	global_store_b128 v[4:5], v[0:3], off
	v_mul_f64 v[0:1], v[12:13], s[0:1]
	v_mul_f64 v[2:3], v[14:15], s[0:1]
	v_add_co_u32 v4, vcc_lo, v4, s3
	v_add_co_ci_u32_e32 v5, vcc_lo, s2, v5, vcc_lo
	v_mul_f64 v[14:15], v[34:35], s[0:1]
	s_delay_alu instid0(VALU_DEP_3) | instskip(NEXT) | instid1(VALU_DEP_3)
	v_add_co_u32 v12, vcc_lo, v4, s4
	v_add_co_ci_u32_e32 v13, vcc_lo, s5, v5, vcc_lo
	v_mul_f64 v[34:35], v[59:60], s[0:1]
	global_store_b128 v[4:5], v[0:3], off
	v_mul_f64 v[0:1], v[16:17], s[0:1]
	v_mul_f64 v[2:3], v[18:19], s[0:1]
	;; [unrolled: 1-line block ×6, first 2 shown]
	scratch_load_b128 v[49:52], off, off offset:120 ; 16-byte Folded Reload
	global_store_b128 v[12:13], v[0:3], off
	v_mul_f64 v[0:1], v[20:21], s[0:1]
	v_mul_f64 v[2:3], v[22:23], s[0:1]
	v_add_co_u32 v20, vcc_lo, v12, s3
	v_add_co_ci_u32_e32 v21, vcc_lo, s2, v13, vcc_lo
	v_mul_f64 v[12:13], v[32:33], s[0:1]
	v_mul_f64 v[32:33], v[57:58], s[0:1]
	global_store_b128 v[20:21], v[0:3], off
	v_add_co_u32 v20, vcc_lo, v20, s3
	v_add_co_ci_u32_e32 v21, vcc_lo, s2, v21, vcc_lo
	ds_load_b128 v[0:3], v48 offset:32000
	v_add_co_u32 v22, vcc_lo, v20, s4
	global_store_b128 v[20:21], v[4:7], off
	scratch_load_b128 v[4:7], off, off offset:152 ; 16-byte Folded Reload
	v_add_co_ci_u32_e32 v23, vcc_lo, s5, v21, vcc_lo
	v_add_co_u32 v28, vcc_lo, v22, s3
	v_mul_f64 v[20:21], v[44:45], s[0:1]
	global_store_b128 v[22:23], v[8:11], off
	v_add_co_ci_u32_e32 v29, vcc_lo, s2, v23, vcc_lo
	v_mul_f64 v[22:23], v[46:47], s[0:1]
	ds_load_b128 v[8:11], v48 offset:52000
	global_store_b128 v[28:29], v[12:15], off
	ds_load_b128 v[12:15], v48 offset:14000
	s_waitcnt vmcnt(1) lgkmcnt(1)
	v_mul_f64 v[44:45], v[51:52], v[8:9]
	s_waitcnt vmcnt(0)
	v_mov_b32_e32 v82, v5
	v_mul_f64 v[36:37], v[6:7], v[2:3]
	v_mul_f64 v[38:39], v[6:7], v[0:1]
	v_mov_b32_e32 v81, v4
	v_mul_f64 v[4:5], v[40:41], s[0:1]
	v_mul_f64 v[6:7], v[42:43], s[0:1]
	v_add_co_u32 v40, vcc_lo, v28, s3
	v_add_co_ci_u32_e32 v41, vcc_lo, s2, v29, vcc_lo
	v_mul_f64 v[28:29], v[53:54], s[0:1]
	scratch_load_b128 v[53:56], off, off offset:72 ; 16-byte Folded Reload
	v_mul_f64 v[42:43], v[51:52], v[10:11]
	global_store_b128 v[40:41], v[16:19], off
	v_add_co_u32 v40, vcc_lo, v40, s4
	v_add_co_ci_u32_e32 v41, vcc_lo, s5, v41, vcc_lo
	v_mul_f64 v[18:19], v[63:64], s[0:1]
	s_delay_alu instid0(VALU_DEP_3) | instskip(NEXT) | instid1(VALU_DEP_3)
	v_add_co_u32 v46, vcc_lo, v40, s3
	v_add_co_ci_u32_e32 v47, vcc_lo, s2, v41, vcc_lo
	v_dual_mov_b32 v64, v50 :: v_dual_mov_b32 v63, v49
	v_mul_f64 v[16:17], v[61:62], s[0:1]
	v_fma_f64 v[49:50], v[81:82], v[0:1], v[36:37]
	v_fma_f64 v[51:52], v[81:82], v[2:3], -v[38:39]
	ds_load_b128 v[0:3], v48 offset:34000
	global_store_b128 v[40:41], v[4:7], off
	v_add_co_u32 v40, vcc_lo, v46, s3
	v_add_co_ci_u32_e32 v41, vcc_lo, s2, v47, vcc_lo
	global_store_b128 v[46:47], v[20:23], off
	ds_load_b128 v[4:7], v48 offset:54000
	v_add_co_u32 v46, vcc_lo, v40, s4
	global_store_b128 v[40:41], v[24:27], off
	scratch_load_b128 v[24:27], off, off offset:56 ; 16-byte Folded Reload
	v_add_co_ci_u32_e32 v47, vcc_lo, s5, v41, vcc_lo
	v_add_co_u32 v40, vcc_lo, v46, s3
	ds_load_b128 v[20:23], v48 offset:58000
	v_add_co_ci_u32_e32 v41, vcc_lo, s2, v47, vcc_lo
	global_store_b128 v[46:47], v[28:31], off
	v_add_co_u32 v46, vcc_lo, v40, s3
	v_fma_f64 v[61:62], v[63:64], v[8:9], v[42:43]
	v_fma_f64 v[63:64], v[63:64], v[10:11], -v[44:45]
	ds_load_b128 v[8:11], v48 offset:16000
	v_add_co_ci_u32_e32 v47, vcc_lo, s2, v41, vcc_lo
	ds_load_b128 v[28:31], v48 offset:36000
	v_mul_f64 v[42:43], v[75:76], s[0:1]
	v_mul_f64 v[44:45], v[77:78], s[0:1]
	s_waitcnt vmcnt(1)
	v_mov_b32_e32 v82, v54
	s_waitcnt lgkmcnt(5)
	v_mul_f64 v[36:37], v[55:56], v[14:15]
	v_mul_f64 v[38:39], v[55:56], v[12:13]
	v_mov_b32_e32 v81, v53
	s_waitcnt vmcnt(0)
	v_mov_b32_e32 v84, v25
	s_waitcnt lgkmcnt(4)
	v_mul_f64 v[53:54], v[26:27], v[2:3]
	v_mul_f64 v[55:56], v[26:27], v[0:1]
	v_mov_b32_e32 v83, v24
	scratch_load_b128 v[24:27], off, off offset:88 ; 16-byte Folded Reload
	v_fma_f64 v[53:54], v[83:84], v[0:1], v[53:54]
	v_fma_f64 v[55:56], v[83:84], v[2:3], -v[55:56]
	s_waitcnt vmcnt(0)
	v_mov_b32_e32 v88, v25
	s_waitcnt lgkmcnt(3)
	v_mul_f64 v[57:58], v[26:27], v[6:7]
	v_mul_f64 v[59:60], v[26:27], v[4:5]
	v_mov_b32_e32 v87, v24
	v_mul_f64 v[24:25], v[65:66], s[0:1]
	v_mul_f64 v[26:27], v[67:68], s[0:1]
	v_fma_f64 v[65:66], v[81:82], v[12:13], v[36:37]
	v_fma_f64 v[67:68], v[81:82], v[14:15], -v[38:39]
	ds_load_b128 v[12:15], v48 offset:18000
	ds_load_b128 v[36:39], v48 offset:56000
	global_store_b128 v[40:41], v[32:35], off
	v_mul_f64 v[40:41], v[73:74], s[0:1]
	scratch_load_b128 v[73:76], off, off offset:8 ; 16-byte Folded Reload
	global_store_b128 v[46:47], v[16:19], off
	v_mul_f64 v[16:17], v[69:70], s[0:1]
	v_mul_f64 v[18:19], v[71:72], s[0:1]
	v_add_co_u32 v81, vcc_lo, v46, s4
	v_add_co_ci_u32_e32 v82, vcc_lo, s5, v47, vcc_lo
	v_mul_f64 v[46:47], v[79:80], s[0:1]
	scratch_load_b128 v[93:96], off, off offset:104 ; 16-byte Folded Reload
	ds_load_b128 v[32:35], v48 offset:38000
	v_fma_f64 v[57:58], v[87:88], v[4:5], v[57:58]
	v_fma_f64 v[59:60], v[87:88], v[6:7], -v[59:60]
	global_store_b128 v[81:82], v[24:27], off
	v_add_co_u32 v26, vcc_lo, v81, s3
	v_add_co_ci_u32_e32 v27, vcc_lo, s2, v82, vcc_lo
	s_delay_alu instid0(VALU_DEP_2) | instskip(NEXT) | instid1(VALU_DEP_2)
	v_add_co_u32 v81, vcc_lo, v26, s3
	v_add_co_ci_u32_e32 v82, vcc_lo, s2, v27, vcc_lo
	global_store_b128 v[26:27], v[16:19], off
	v_add_co_u32 v16, vcc_lo, v81, s4
	v_add_co_ci_u32_e32 v17, vcc_lo, s5, v82, vcc_lo
	s_delay_alu instid0(VALU_DEP_2)
	v_add_co_u32 v48, vcc_lo, v16, s3
	v_mul_f64 v[18:19], v[59:60], s[0:1]
	s_waitcnt vmcnt(1) lgkmcnt(4)
	v_mul_f64 v[69:70], v[75:76], v[10:11]
	v_mul_f64 v[71:72], v[75:76], v[8:9]
	scratch_load_b128 v[75:78], off, off offset:24 ; 16-byte Folded Reload
	v_dual_mov_b32 v86, v74 :: v_dual_mov_b32 v85, v73
	s_waitcnt vmcnt(1) lgkmcnt(2)
	v_mul_f64 v[4:5], v[95:96], v[12:13]
	s_delay_alu instid0(VALU_DEP_2)
	v_fma_f64 v[26:27], v[85:86], v[8:9], v[69:70]
	v_mul_f64 v[8:9], v[65:66], s[0:1]
	s_waitcnt vmcnt(0)
	v_mul_f64 v[73:74], v[77:78], v[30:31]
	v_mul_f64 v[0:1], v[77:78], v[28:29]
	scratch_load_b128 v[77:80], off, off offset:40 ; 16-byte Folded Reload
	v_dual_mov_b32 v90, v76 :: v_dual_mov_b32 v89, v75
	s_delay_alu instid0(VALU_DEP_1)
	v_fma_f64 v[28:29], v[89:90], v[28:29], v[73:74]
	v_fma_f64 v[30:31], v[89:90], v[30:31], -v[0:1]
	v_mul_f64 v[0:1], v[49:50], s[0:1]
	v_add_co_ci_u32_e32 v49, vcc_lo, s2, v17, vcc_lo
	v_add_co_u32 v50, vcc_lo, v48, s3
	s_waitcnt vmcnt(0)
	v_dual_mov_b32 v92, v78 :: v_dual_mov_b32 v91, v77
	v_mul_f64 v[77:78], v[95:96], v[14:15]
	scratch_load_b128 v[95:98], off, off offset:136 ; 16-byte Folded Reload
	s_waitcnt lgkmcnt(1)
	v_mul_f64 v[2:3], v[79:80], v[38:39]
	v_mul_f64 v[75:76], v[79:80], v[36:37]
	s_delay_alu instid0(VALU_DEP_2) | instskip(NEXT) | instid1(VALU_DEP_2)
	v_fma_f64 v[36:37], v[91:92], v[36:37], v[2:3]
	v_fma_f64 v[38:39], v[91:92], v[38:39], -v[75:76]
	v_mul_f64 v[2:3], v[51:52], s[0:1]
	v_add_co_ci_u32_e32 v51, vcc_lo, s2, v49, vcc_lo
	s_waitcnt vmcnt(0) lgkmcnt(0)
	v_mul_f64 v[6:7], v[97:98], v[34:35]
	v_mul_f64 v[79:80], v[97:98], v[32:33]
	scratch_load_b128 v[97:100], off, off offset:168 ; 16-byte Folded Reload
	global_store_b128 v[81:82], v[40:43], off
	global_store_b128 v[16:17], v[44:47], off
	v_fma_f64 v[40:41], v[85:86], v[10:11], -v[71:72]
	v_fma_f64 v[42:43], v[93:94], v[12:13], v[77:78]
	v_fma_f64 v[44:45], v[93:94], v[14:15], -v[4:5]
	v_mul_f64 v[4:5], v[61:62], s[0:1]
	v_mul_f64 v[10:11], v[67:68], s[0:1]
	v_add_co_u32 v61, vcc_lo, v50, s4
	v_add_co_ci_u32_e32 v62, vcc_lo, s5, v51, vcc_lo
	v_mul_f64 v[12:13], v[53:54], s[0:1]
	v_mul_f64 v[14:15], v[55:56], s[0:1]
	;; [unrolled: 1-line block ×3, first 2 shown]
	v_add_co_u32 v52, vcc_lo, v61, s3
	v_add_co_ci_u32_e32 v53, vcc_lo, s2, v62, vcc_lo
	global_store_b128 v[48:49], v[0:3], off
	v_fma_f64 v[46:47], v[95:96], v[32:33], v[6:7]
	v_fma_f64 v[69:70], v[95:96], v[34:35], -v[79:80]
	v_mul_f64 v[6:7], v[63:64], s[0:1]
	v_mul_f64 v[32:33], v[42:43], s[0:1]
	;; [unrolled: 1-line block ×3, first 2 shown]
	v_add_co_u32 v44, vcc_lo, v52, s3
	v_add_co_ci_u32_e32 v45, vcc_lo, s2, v53, vcc_lo
	s_delay_alu instid0(VALU_DEP_2) | instskip(NEXT) | instid1(VALU_DEP_2)
	v_add_co_u32 v0, vcc_lo, v44, s4
	v_add_co_ci_u32_e32 v1, vcc_lo, s5, v45, vcc_lo
	s_delay_alu instid0(VALU_DEP_2) | instskip(NEXT) | instid1(VALU_DEP_2)
	v_add_co_u32 v2, vcc_lo, v0, s3
	v_add_co_ci_u32_e32 v3, vcc_lo, s2, v1, vcc_lo
	global_store_b128 v[50:51], v[4:7], off
	v_add_co_u32 v4, vcc_lo, v2, s3
	v_add_co_ci_u32_e32 v5, vcc_lo, s2, v3, vcc_lo
	global_store_b128 v[61:62], v[8:11], off
	;; [unrolled: 3-line block ×4, first 2 shown]
	s_waitcnt vmcnt(0)
	v_mul_f64 v[83:84], v[99:100], v[22:23]
	v_mul_f64 v[24:25], v[99:100], v[20:21]
	s_delay_alu instid0(VALU_DEP_2) | instskip(NEXT) | instid1(VALU_DEP_2)
	v_fma_f64 v[71:72], v[97:98], v[20:21], v[83:84]
	v_fma_f64 v[73:74], v[97:98], v[22:23], -v[24:25]
	v_mul_f64 v[20:21], v[26:27], s[0:1]
	v_mul_f64 v[22:23], v[40:41], s[0:1]
	;; [unrolled: 1-line block ×10, first 2 shown]
	global_store_b128 v[0:1], v[20:23], off
	v_add_co_u32 v0, vcc_lo, v8, s3
	v_add_co_ci_u32_e32 v1, vcc_lo, s2, v9, vcc_lo
	global_store_b128 v[2:3], v[24:27], off
	global_store_b128 v[4:5], v[28:31], off
	global_store_b128 v[6:7], v[32:35], off
	global_store_b128 v[8:9], v[36:39], off
	global_store_b128 v[0:1], v[40:43], off
.LBB0_2:
	s_nop 0
	s_sendmsg sendmsg(MSG_DEALLOC_VGPRS)
	s_endpgm
	.section	.rodata,"a",@progbits
	.p2align	6, 0x0
	.amdhsa_kernel bluestein_single_fwd_len3750_dim1_dp_op_CI_CI
		.amdhsa_group_segment_fixed_size 60000
		.amdhsa_private_segment_fixed_size 1840
		.amdhsa_kernarg_size 104
		.amdhsa_user_sgpr_count 15
		.amdhsa_user_sgpr_dispatch_ptr 0
		.amdhsa_user_sgpr_queue_ptr 0
		.amdhsa_user_sgpr_kernarg_segment_ptr 1
		.amdhsa_user_sgpr_dispatch_id 0
		.amdhsa_user_sgpr_private_segment_size 0
		.amdhsa_wavefront_size32 1
		.amdhsa_uses_dynamic_stack 0
		.amdhsa_enable_private_segment 1
		.amdhsa_system_sgpr_workgroup_id_x 1
		.amdhsa_system_sgpr_workgroup_id_y 0
		.amdhsa_system_sgpr_workgroup_id_z 0
		.amdhsa_system_sgpr_workgroup_info 0
		.amdhsa_system_vgpr_workitem_id 0
		.amdhsa_next_free_vgpr 256
		.amdhsa_next_free_sgpr 29
		.amdhsa_reserve_vcc 1
		.amdhsa_float_round_mode_32 0
		.amdhsa_float_round_mode_16_64 0
		.amdhsa_float_denorm_mode_32 3
		.amdhsa_float_denorm_mode_16_64 3
		.amdhsa_dx10_clamp 1
		.amdhsa_ieee_mode 1
		.amdhsa_fp16_overflow 0
		.amdhsa_workgroup_processor_mode 1
		.amdhsa_memory_ordered 1
		.amdhsa_forward_progress 0
		.amdhsa_shared_vgpr_count 0
		.amdhsa_exception_fp_ieee_invalid_op 0
		.amdhsa_exception_fp_denorm_src 0
		.amdhsa_exception_fp_ieee_div_zero 0
		.amdhsa_exception_fp_ieee_overflow 0
		.amdhsa_exception_fp_ieee_underflow 0
		.amdhsa_exception_fp_ieee_inexact 0
		.amdhsa_exception_int_div_zero 0
	.end_amdhsa_kernel
	.text
.Lfunc_end0:
	.size	bluestein_single_fwd_len3750_dim1_dp_op_CI_CI, .Lfunc_end0-bluestein_single_fwd_len3750_dim1_dp_op_CI_CI
                                        ; -- End function
	.section	.AMDGPU.csdata,"",@progbits
; Kernel info:
; codeLenInByte = 53856
; NumSgprs: 31
; NumVgprs: 256
; ScratchSize: 1840
; MemoryBound: 0
; FloatMode: 240
; IeeeMode: 1
; LDSByteSize: 60000 bytes/workgroup (compile time only)
; SGPRBlocks: 3
; VGPRBlocks: 31
; NumSGPRsForWavesPerEU: 31
; NumVGPRsForWavesPerEU: 256
; Occupancy: 2
; WaveLimiterHint : 1
; COMPUTE_PGM_RSRC2:SCRATCH_EN: 1
; COMPUTE_PGM_RSRC2:USER_SGPR: 15
; COMPUTE_PGM_RSRC2:TRAP_HANDLER: 0
; COMPUTE_PGM_RSRC2:TGID_X_EN: 1
; COMPUTE_PGM_RSRC2:TGID_Y_EN: 0
; COMPUTE_PGM_RSRC2:TGID_Z_EN: 0
; COMPUTE_PGM_RSRC2:TIDIG_COMP_CNT: 0
	.text
	.p2alignl 7, 3214868480
	.fill 96, 4, 3214868480
	.type	__hip_cuid_30d48f13d6c7c53d,@object ; @__hip_cuid_30d48f13d6c7c53d
	.section	.bss,"aw",@nobits
	.globl	__hip_cuid_30d48f13d6c7c53d
__hip_cuid_30d48f13d6c7c53d:
	.byte	0                               ; 0x0
	.size	__hip_cuid_30d48f13d6c7c53d, 1

	.ident	"AMD clang version 19.0.0git (https://github.com/RadeonOpenCompute/llvm-project roc-6.4.0 25133 c7fe45cf4b819c5991fe208aaa96edf142730f1d)"
	.section	".note.GNU-stack","",@progbits
	.addrsig
	.addrsig_sym __hip_cuid_30d48f13d6c7c53d
	.amdgpu_metadata
---
amdhsa.kernels:
  - .args:
      - .actual_access:  read_only
        .address_space:  global
        .offset:         0
        .size:           8
        .value_kind:     global_buffer
      - .actual_access:  read_only
        .address_space:  global
        .offset:         8
        .size:           8
        .value_kind:     global_buffer
      - .actual_access:  read_only
        .address_space:  global
        .offset:         16
        .size:           8
        .value_kind:     global_buffer
      - .actual_access:  read_only
        .address_space:  global
        .offset:         24
        .size:           8
        .value_kind:     global_buffer
      - .actual_access:  read_only
        .address_space:  global
        .offset:         32
        .size:           8
        .value_kind:     global_buffer
      - .offset:         40
        .size:           8
        .value_kind:     by_value
      - .address_space:  global
        .offset:         48
        .size:           8
        .value_kind:     global_buffer
      - .address_space:  global
        .offset:         56
        .size:           8
        .value_kind:     global_buffer
      - .address_space:  global
        .offset:         64
        .size:           8
        .value_kind:     global_buffer
      - .address_space:  global
        .offset:         72
        .size:           8
        .value_kind:     global_buffer
      - .offset:         80
        .size:           4
        .value_kind:     by_value
      - .address_space:  global
        .offset:         88
        .size:           8
        .value_kind:     global_buffer
      - .address_space:  global
        .offset:         96
        .size:           8
        .value_kind:     global_buffer
    .group_segment_fixed_size: 60000
    .kernarg_segment_align: 8
    .kernarg_segment_size: 104
    .language:       OpenCL C
    .language_version:
      - 2
      - 0
    .max_flat_workgroup_size: 125
    .name:           bluestein_single_fwd_len3750_dim1_dp_op_CI_CI
    .private_segment_fixed_size: 1840
    .sgpr_count:     31
    .sgpr_spill_count: 0
    .symbol:         bluestein_single_fwd_len3750_dim1_dp_op_CI_CI.kd
    .uniform_work_group_size: 1
    .uses_dynamic_stack: false
    .vgpr_count:     256
    .vgpr_spill_count: 459
    .wavefront_size: 32
    .workgroup_processor_mode: 1
amdhsa.target:   amdgcn-amd-amdhsa--gfx1100
amdhsa.version:
  - 1
  - 2
...

	.end_amdgpu_metadata
